;; amdgpu-corpus repo=ROCm/rocFFT kind=compiled arch=gfx1030 opt=O3
	.text
	.amdgcn_target "amdgcn-amd-amdhsa--gfx1030"
	.amdhsa_code_object_version 6
	.protected	bluestein_single_back_len550_dim1_half_op_CI_CI ; -- Begin function bluestein_single_back_len550_dim1_half_op_CI_CI
	.globl	bluestein_single_back_len550_dim1_half_op_CI_CI
	.p2align	8
	.type	bluestein_single_back_len550_dim1_half_op_CI_CI,@function
bluestein_single_back_len550_dim1_half_op_CI_CI: ; @bluestein_single_back_len550_dim1_half_op_CI_CI
; %bb.0:
	s_load_dwordx4 s[0:3], s[4:5], 0x28
	v_mul_u32_u24_e32 v1, 0x4a8, v0
	v_mov_b32_e32 v17, 0
	v_lshrrev_b32_e32 v1, 16, v1
	v_add_nc_u32_e32 v16, s6, v1
	s_waitcnt lgkmcnt(0)
	v_cmp_gt_u64_e32 vcc_lo, s[0:1], v[16:17]
	s_and_saveexec_b32 s0, vcc_lo
	s_cbranch_execz .LBB0_15
; %bb.1:
	s_clause 0x1
	s_load_dwordx2 s[20:21], s[4:5], 0x0
	s_load_dwordx2 s[8:9], s[4:5], 0x38
	v_mul_lo_u16 v1, v1, 55
	v_sub_nc_u16 v0, v0, v1
	v_and_b32_e32 v28, 0xffff, v0
	v_cmp_gt_u16_e32 vcc_lo, 50, v0
	v_lshlrev_b32_e32 v27, 2, v28
	s_and_saveexec_b32 s1, vcc_lo
	s_cbranch_execz .LBB0_3
; %bb.2:
	s_load_dwordx2 s[6:7], s[4:5], 0x18
	s_waitcnt lgkmcnt(0)
	s_load_dwordx4 s[12:15], s[6:7], 0x0
	s_waitcnt lgkmcnt(0)
	v_mad_u64_u32 v[0:1], null, s14, v16, 0
	v_mad_u64_u32 v[2:3], null, s12, v28, 0
	s_mul_i32 s6, s13, 0xc8
	s_mul_hi_u32 s7, s12, 0xc8
	s_add_i32 s7, s7, s6
	v_mad_u64_u32 v[4:5], null, s15, v16, v[1:2]
	v_mad_u64_u32 v[5:6], null, s13, v28, v[3:4]
	v_mov_b32_e32 v1, v4
	v_lshlrev_b64 v[0:1], 2, v[0:1]
	v_mov_b32_e32 v3, v5
	s_clause 0x1
	global_load_dword v4, v27, s[20:21]
	global_load_dword v5, v27, s[20:21] offset:200
	v_add_co_u32 v0, s0, s2, v0
	v_lshlrev_b64 v[2:3], 2, v[2:3]
	v_add_co_ci_u32_e64 v1, s0, s3, v1, s0
	s_mul_i32 s2, s12, 0xc8
	v_add_co_u32 v0, s0, v0, v2
	v_add_co_ci_u32_e64 v1, s0, v1, v3, s0
	v_add_co_u32 v2, s0, v0, s2
	v_add_co_ci_u32_e64 v3, s0, s7, v1, s0
	s_clause 0x1
	global_load_dword v6, v[0:1], off
	global_load_dword v7, v[2:3], off
	v_add_co_u32 v0, s0, v2, s2
	v_add_co_ci_u32_e64 v1, s0, s7, v3, s0
	v_add_co_u32 v2, s0, v0, s2
	v_add_co_ci_u32_e64 v3, s0, s7, v1, s0
	global_load_dword v8, v[0:1], off
	v_add_co_u32 v0, s0, v2, s2
	v_add_co_ci_u32_e64 v1, s0, s7, v3, s0
	s_clause 0x1
	global_load_dword v9, v27, s[20:21] offset:400
	global_load_dword v10, v27, s[20:21] offset:600
	s_clause 0x1
	global_load_dword v11, v[2:3], off
	global_load_dword v12, v[0:1], off
	v_add_co_u32 v0, s0, v0, s2
	v_add_co_ci_u32_e64 v1, s0, s7, v1, s0
	s_clause 0x3
	global_load_dword v13, v27, s[20:21] offset:800
	global_load_dword v14, v27, s[20:21] offset:1000
	;; [unrolled: 1-line block ×4, first 2 shown]
	v_add_co_u32 v2, s0, v0, s2
	v_add_co_ci_u32_e64 v3, s0, s7, v1, s0
	global_load_dword v18, v[0:1], off
	v_add_co_u32 v0, s0, v2, s2
	v_add_co_ci_u32_e64 v1, s0, s7, v3, s0
	global_load_dword v19, v[2:3], off
	;; [unrolled: 3-line block ×4, first 2 shown]
	v_add_co_u32 v2, s0, v0, s2
	v_add_co_ci_u32_e64 v3, s0, s7, v1, s0
	global_load_dword v22, v27, s[20:21] offset:1600
	global_load_dword v0, v[0:1], off
	global_load_dword v1, v[2:3], off
	s_clause 0x1
	global_load_dword v2, v27, s[20:21] offset:1800
	global_load_dword v3, v27, s[20:21] offset:2000
	s_waitcnt vmcnt(19)
	v_lshrrev_b32_e32 v23, 16, v6
	v_mul_f16_sdwa v24, v4, v6 dst_sel:DWORD dst_unused:UNUSED_PAD src0_sel:WORD_1 src1_sel:DWORD
	s_waitcnt vmcnt(18)
	v_lshrrev_b32_e32 v26, 16, v7
	v_mul_f16_sdwa v29, v5, v7 dst_sel:DWORD dst_unused:UNUSED_PAD src0_sel:WORD_1 src1_sel:DWORD
	v_mul_f16_sdwa v25, v4, v23 dst_sel:DWORD dst_unused:UNUSED_PAD src0_sel:WORD_1 src1_sel:DWORD
	v_fma_f16 v23, v4, v23, -v24
	v_fma_f16 v24, v5, v26, -v29
	v_fmac_f16_e32 v25, v4, v6
	v_mul_f16_sdwa v4, v5, v26 dst_sel:DWORD dst_unused:UNUSED_PAD src0_sel:WORD_1 src1_sel:DWORD
	s_waitcnt vmcnt(17)
	v_lshrrev_b32_e32 v6, 16, v8
	s_waitcnt vmcnt(16)
	v_mul_f16_sdwa v26, v9, v8 dst_sel:DWORD dst_unused:UNUSED_PAD src0_sel:WORD_1 src1_sel:DWORD
	v_fmac_f16_e32 v4, v5, v7
	v_pack_b32_f16 v23, v25, v23
	v_mul_f16_sdwa v5, v9, v6 dst_sel:DWORD dst_unused:UNUSED_PAD src0_sel:WORD_1 src1_sel:DWORD
	s_waitcnt vmcnt(14)
	v_lshrrev_b32_e32 v7, 16, v11
	v_fma_f16 v6, v9, v6, -v26
	v_pack_b32_f16 v4, v4, v24
	v_mul_f16_sdwa v25, v10, v11 dst_sel:DWORD dst_unused:UNUSED_PAD src0_sel:WORD_1 src1_sel:DWORD
	v_fmac_f16_e32 v5, v9, v8
	s_waitcnt vmcnt(13)
	v_lshrrev_b32_e32 v9, 16, v12
	v_mul_f16_sdwa v8, v10, v7 dst_sel:DWORD dst_unused:UNUSED_PAD src0_sel:WORD_1 src1_sel:DWORD
	s_waitcnt vmcnt(12)
	v_mul_f16_sdwa v24, v13, v12 dst_sel:DWORD dst_unused:UNUSED_PAD src0_sel:WORD_1 src1_sel:DWORD
	ds_write2_b32 v27, v23, v4 offset1:50
	v_pack_b32_f16 v4, v5, v6
	v_mul_f16_sdwa v5, v13, v9 dst_sel:DWORD dst_unused:UNUSED_PAD src0_sel:WORD_1 src1_sel:DWORD
	v_fma_f16 v7, v10, v7, -v25
	v_fmac_f16_e32 v8, v10, v11
	s_waitcnt vmcnt(8)
	v_lshrrev_b32_e32 v6, 16, v18
	v_fma_f16 v9, v13, v9, -v24
	v_mul_f16_sdwa v10, v14, v18 dst_sel:DWORD dst_unused:UNUSED_PAD src0_sel:WORD_1 src1_sel:DWORD
	v_fmac_f16_e32 v5, v13, v12
	s_waitcnt vmcnt(7)
	v_lshrrev_b32_e32 v11, 16, v19
	v_pack_b32_f16 v7, v8, v7
	v_mul_f16_sdwa v8, v14, v6 dst_sel:DWORD dst_unused:UNUSED_PAD src0_sel:WORD_1 src1_sel:DWORD
	v_fma_f16 v6, v14, v6, -v10
	v_mul_f16_sdwa v10, v15, v19 dst_sel:DWORD dst_unused:UNUSED_PAD src0_sel:WORD_1 src1_sel:DWORD
	v_pack_b32_f16 v5, v5, v9
	v_mul_f16_sdwa v9, v15, v11 dst_sel:DWORD dst_unused:UNUSED_PAD src0_sel:WORD_1 src1_sel:DWORD
	v_fmac_f16_e32 v8, v14, v18
	s_waitcnt vmcnt(6)
	v_lshrrev_b32_e32 v12, 16, v20
	v_mul_f16_sdwa v13, v17, v20 dst_sel:DWORD dst_unused:UNUSED_PAD src0_sel:WORD_1 src1_sel:DWORD
	v_fma_f16 v10, v15, v11, -v10
	v_fmac_f16_e32 v9, v15, v19
	v_pack_b32_f16 v6, v8, v6
	v_mul_f16_sdwa v8, v17, v12 dst_sel:DWORD dst_unused:UNUSED_PAD src0_sel:WORD_1 src1_sel:DWORD
	v_fma_f16 v11, v17, v12, -v13
	s_waitcnt vmcnt(5)
	v_lshrrev_b32_e32 v12, 16, v21
	s_waitcnt vmcnt(4)
	v_mul_f16_sdwa v13, v22, v21 dst_sel:DWORD dst_unused:UNUSED_PAD src0_sel:WORD_1 src1_sel:DWORD
	v_pack_b32_f16 v9, v9, v10
	s_waitcnt vmcnt(3)
	v_lshrrev_b32_e32 v10, 16, v0
	s_waitcnt vmcnt(2)
	v_lshrrev_b32_e32 v14, 16, v1
	v_fmac_f16_e32 v8, v17, v20
	v_mul_f16_sdwa v15, v22, v12 dst_sel:DWORD dst_unused:UNUSED_PAD src0_sel:WORD_1 src1_sel:DWORD
	v_fma_f16 v12, v22, v12, -v13
	s_waitcnt vmcnt(1)
	v_mul_f16_sdwa v13, v2, v0 dst_sel:DWORD dst_unused:UNUSED_PAD src0_sel:WORD_1 src1_sel:DWORD
	v_mul_f16_sdwa v17, v2, v10 dst_sel:DWORD dst_unused:UNUSED_PAD src0_sel:WORD_1 src1_sel:DWORD
	s_waitcnt vmcnt(0)
	v_mul_f16_sdwa v18, v3, v14 dst_sel:DWORD dst_unused:UNUSED_PAD src0_sel:WORD_1 src1_sel:DWORD
	v_mul_f16_sdwa v19, v3, v1 dst_sel:DWORD dst_unused:UNUSED_PAD src0_sel:WORD_1 src1_sel:DWORD
	v_fmac_f16_e32 v15, v22, v21
	v_fma_f16 v10, v2, v10, -v13
	v_fmac_f16_e32 v17, v2, v0
	v_fmac_f16_e32 v18, v3, v1
	v_fma_f16 v0, v3, v14, -v19
	v_pack_b32_f16 v1, v8, v11
	v_add_nc_u32_e32 v2, 0x400, v27
	v_pack_b32_f16 v3, v15, v12
	v_pack_b32_f16 v8, v17, v10
	;; [unrolled: 1-line block ×3, first 2 shown]
	ds_write2_b32 v27, v4, v7 offset0:100 offset1:150
	ds_write2_b32 v27, v5, v6 offset0:200 offset1:250
	;; [unrolled: 1-line block ×4, first 2 shown]
	ds_write_b32 v27, v0 offset:2000
.LBB0_3:
	s_or_b32 exec_lo, exec_lo, s1
	s_clause 0x1
	s_load_dwordx2 s[2:3], s[4:5], 0x20
	s_load_dwordx2 s[0:1], s[4:5], 0x8
	v_mov_b32_e32 v0, 0
	s_waitcnt lgkmcnt(0)
	s_barrier
	buffer_gl0_inv
                                        ; implicit-def: $vgpr10
                                        ; implicit-def: $vgpr3
                                        ; implicit-def: $vgpr5
                                        ; implicit-def: $vgpr7
                                        ; implicit-def: $vgpr9
	s_and_saveexec_b32 s4, vcc_lo
	s_cbranch_execz .LBB0_5
; %bb.4:
	v_add_nc_u32_e32 v2, 0x400, v27
	ds_read2_b32 v[0:1], v27 offset1:50
	ds_read2_b32 v[8:9], v27 offset0:100 offset1:150
	ds_read2_b32 v[6:7], v27 offset0:200 offset1:250
	;; [unrolled: 1-line block ×4, first 2 shown]
	ds_read_b32 v10, v27 offset:2000
.LBB0_5:
	s_or_b32 exec_lo, exec_lo, s4
	s_waitcnt lgkmcnt(0)
	v_pk_add_f16 v11, v1, v10 neg_lo:[0,1] neg_hi:[0,1]
	v_mov_b32_e32 v44, 0xb853
	v_pk_add_f16 v17, v10, v1
	v_pk_add_f16 v12, v8, v3 neg_lo:[0,1] neg_hi:[0,1]
	v_mov_b32_e32 v42, 0xbb47
	v_pk_add_f16 v18, v3, v8
	v_mul_f16_sdwa v32, v11, v44 dst_sel:DWORD dst_unused:UNUSED_PAD src0_sel:WORD_1 src1_sel:DWORD
	v_pk_add_f16 v13, v9, v2 neg_lo:[0,1] neg_hi:[0,1]
	v_lshrrev_b32_e32 v24, 16, v17
	v_mul_f16_e32 v40, 0xb853, v11
	v_mul_f16_sdwa v34, v12, v42 dst_sel:DWORD dst_unused:UNUSED_PAD src0_sel:WORD_1 src1_sel:DWORD
	v_fmamk_f16 v14, v17, 0x3abb, v32
	v_mov_b32_e32 v15, 0xbbeb
	v_lshrrev_b32_e32 v23, 16, v18
	v_fma_f16 v20, v24, 0x3abb, -v40
	v_fmamk_f16 v21, v18, 0x36a6, v34
	v_add_f16_e32 v14, v14, v0
	v_mul_f16_e32 v41, 0xbb47, v12
	v_pk_add_f16 v19, v2, v9
	v_mul_f16_sdwa v33, v13, v15 dst_sel:DWORD dst_unused:UNUSED_PAD src0_sel:WORD_1 src1_sel:DWORD
	v_add_f16_sdwa v20, v20, v0 dst_sel:DWORD dst_unused:UNUSED_PAD src0_sel:DWORD src1_sel:WORD_1
	v_add_f16_e32 v15, v21, v14
	v_fma_f16 v25, v23, 0x36a6, -v41
	v_lshrrev_b32_e32 v22, 16, v19
	v_mul_f16_e32 v38, 0xbbeb, v13
	v_fmamk_f16 v26, v19, 0xb08e, v33
	v_pk_add_f16 v14, v6, v5 neg_lo:[0,1] neg_hi:[0,1]
	v_mov_b32_e32 v43, 0xba0c
	v_pk_add_f16 v21, v5, v6
	v_add_f16_e32 v29, v25, v20
	v_add_f16_e32 v30, v26, v15
	v_fma_f16 v26, v22, 0xb08e, -v38
	v_mul_f16_sdwa v35, v14, v43 dst_sel:DWORD dst_unused:UNUSED_PAD src0_sel:WORD_1 src1_sel:DWORD
	v_lshrrev_b32_e32 v25, 16, v21
	v_mul_f16_e32 v37, 0xba0c, v14
	v_pk_add_f16 v15, v7, v4 neg_lo:[0,1] neg_hi:[0,1]
	v_mov_b32_e32 v45, 0xb482
	v_pk_add_f16 v20, v4, v7
	v_add_f16_e32 v29, v26, v29
	v_fmamk_f16 v31, v21, 0xb93d, v35
	v_fma_f16 v46, v25, 0xb93d, -v37
	v_mul_f16_sdwa v36, v15, v45 dst_sel:DWORD dst_unused:UNUSED_PAD src0_sel:WORD_1 src1_sel:DWORD
	v_lshrrev_b32_e32 v26, 16, v20
	v_mul_f16_e32 v39, 0xb482, v15
	v_add_f16_e32 v30, v31, v30
	v_add_f16_e32 v29, v46, v29
	v_fmamk_f16 v31, v20, 0xbbad, v36
	v_fma_f16 v46, v26, 0xbbad, -v39
	s_barrier
	buffer_gl0_inv
	v_add_f16_e32 v30, v31, v30
	v_add_f16_e32 v31, v46, v29
	v_mul_lo_u16 v29, v28, 11
	s_and_saveexec_b32 s4, vcc_lo
	s_cbranch_execz .LBB0_7
; %bb.6:
	v_mul_f16_e32 v46, 0xba0c, v11
	v_mul_f16_e32 v47, 0x3beb, v12
	;; [unrolled: 1-line block ×3, first 2 shown]
	v_mul_f16_sdwa v50, v11, v43 dst_sel:DWORD dst_unused:UNUSED_PAD src0_sel:WORD_1 src1_sel:DWORD
	v_mov_b32_e32 v52, 0x3beb
	v_fmamk_f16 v51, v24, 0xb93d, v46
	v_fmamk_f16 v54, v23, 0xb08e, v47
	;; [unrolled: 1-line block ×3, first 2 shown]
	v_fma_f16 v55, v17, 0xb93d, -v50
	v_mul_f16_sdwa v56, v12, v52 dst_sel:DWORD dst_unused:UNUSED_PAD src0_sel:WORD_1 src1_sel:DWORD
	v_add_f16_sdwa v51, v51, v0 dst_sel:DWORD dst_unused:UNUSED_PAD src0_sel:DWORD src1_sel:WORD_1
	v_mul_f16_e32 v58, 0xbbeb, v11
	v_mul_f16_sdwa v44, v13, v44 dst_sel:DWORD dst_unused:UNUSED_PAD src0_sel:WORD_1 src1_sel:DWORD
	v_add_f16_e32 v55, v55, v0
	v_mul_f16_e32 v61, 0x3482, v12
	v_add_f16_e32 v51, v54, v51
	v_fma_f16 v54, v18, 0xb08e, -v56
	v_mul_f16_e32 v49, 0xb482, v14
	v_mul_f16_sdwa v45, v14, v45 dst_sel:DWORD dst_unused:UNUSED_PAD src0_sel:WORD_1 src1_sel:DWORD
	v_fma_f16 v60, v19, 0x3abb, -v44
	v_add_f16_e32 v51, v57, v51
	v_fmamk_f16 v57, v24, 0xb08e, v58
	v_add_f16_e32 v54, v54, v55
	v_mov_b32_e32 v55, 0x3b47
	v_fmamk_f16 v63, v23, 0xbbad, v61
	v_mul_f16_e32 v64, 0x3b47, v13
	v_add_f16_sdwa v57, v57, v0 dst_sel:DWORD dst_unused:UNUSED_PAD src0_sel:DWORD src1_sel:WORD_1
	v_fmamk_f16 v59, v25, 0xbbad, v49
	v_add_f16_e32 v54, v60, v54
	v_fma_f16 v60, v21, 0xbbad, -v45
	v_mul_f16_sdwa v55, v15, v55 dst_sel:DWORD dst_unused:UNUSED_PAD src0_sel:WORD_1 src1_sel:DWORD
	v_add_f16_e32 v57, v63, v57
	v_fmamk_f16 v63, v22, 0x36a6, v64
	v_mul_f16_e32 v65, 0xb853, v14
	v_mul_f16_e32 v53, 0x36a6, v26
	v_add_f16_e32 v51, v59, v51
	v_add_f16_e32 v54, v60, v54
	v_fma_f16 v59, v20, 0x36a6, -v55
	v_add_f16_e32 v57, v63, v57
	v_fmamk_f16 v60, v25, 0x3abb, v65
	v_mul_f16_sdwa v42, v11, v42 dst_sel:DWORD dst_unused:UNUSED_PAD src0_sel:WORD_1 src1_sel:DWORD
	v_mul_f16_e32 v63, 0x3abb, v24
	v_fmamk_f16 v62, v15, 0x3b47, v53
	v_add_f16_e32 v54, v59, v54
	v_add_f16_e32 v57, v60, v57
	v_fma_f16 v59, v17, 0x36a6, -v42
	v_mul_f16_sdwa v43, v12, v43 dst_sel:DWORD dst_unused:UNUSED_PAD src0_sel:WORD_1 src1_sel:DWORD
	v_mov_b32_e32 v60, 0x3482
	v_mul_f16_e32 v67, 0x36a6, v23
	v_add_f16_e32 v40, v40, v63
	v_add_f16_e32 v51, v62, v51
	v_mul_f16_e32 v62, 0xba0c, v15
	v_add_f16_e32 v59, v59, v0
	v_fma_f16 v66, v18, 0xb93d, -v43
	v_mul_f16_sdwa v60, v13, v60 dst_sel:DWORD dst_unused:UNUSED_PAD src0_sel:WORD_1 src1_sel:DWORD
	v_add_f16_e32 v41, v41, v67
	v_add_f16_sdwa v40, v40, v0 dst_sel:DWORD dst_unused:UNUSED_PAD src0_sel:DWORD src1_sel:WORD_1
	v_fmamk_f16 v63, v26, 0xb93d, v62
	v_add_f16_e32 v59, v66, v59
	v_fma_f16 v66, v19, 0xbbad, -v60
	v_mul_f16_sdwa v52, v14, v52 dst_sel:DWORD dst_unused:UNUSED_PAD src0_sel:WORD_1 src1_sel:DWORD
	v_add_f16_e32 v40, v41, v40
	v_mul_f16_e32 v41, 0x3abb, v17
	v_add_f16_e32 v57, v63, v57
	v_mul_f16_e32 v63, 0xb08e, v22
	v_add_f16_e32 v59, v66, v59
	v_fma_f16 v66, v21, 0xb08e, -v52
	v_mul_f16_e32 v67, 0x36a6, v18
	v_sub_f16_e32 v32, v41, v32
	v_add_f16_e32 v38, v38, v63
	v_mov_b32_e32 v63, 0x3853
	v_add_f16_e32 v41, v66, v59
	v_mul_f16_e32 v59, 0xb93d, v25
	v_sub_f16_e32 v34, v67, v34
	v_add_f16_e32 v32, v32, v0
	v_add_f16_e32 v38, v38, v40
	v_mul_f16_e32 v40, 0xb08e, v19
	v_add_f16_e32 v37, v37, v59
	v_mul_f16_sdwa v63, v15, v63 dst_sel:DWORD dst_unused:UNUSED_PAD src0_sel:WORD_1 src1_sel:DWORD
	v_add_f16_e32 v32, v34, v32
	v_mul_f16_e32 v34, 0xbbad, v26
	v_sub_f16_e32 v33, v40, v33
	v_add_f16_e32 v37, v37, v38
	v_fma_f16 v66, v20, 0x3abb, -v63
	v_fmac_f16_e32 v50, 0xb93d, v17
	v_add_f16_e32 v34, v39, v34
	v_add_f16_e32 v32, v33, v32
	v_mul_f16_e32 v33, 0xbbad, v20
	v_pk_add_f16 v1, v1, v0
	v_add_f16_e32 v40, v66, v41
	v_add_f16_e32 v34, v34, v37
	v_fma_f16 v37, v24, 0xb93d, -v46
	v_sub_f16_e32 v33, v33, v36
	v_mul_f16_e32 v41, 0xb93d, v21
	v_fmac_f16_e32 v56, 0xb08e, v18
	v_fma_f16 v24, v24, 0xb08e, -v58
	v_add_f16_sdwa v36, v37, v0 dst_sel:DWORD dst_unused:UNUSED_PAD src0_sel:DWORD src1_sel:WORD_1
	v_fma_f16 v37, v23, 0xb08e, -v47
	v_pk_add_f16 v1, v8, v1
	v_sub_f16_e32 v35, v41, v35
	v_pk_mul_f16 v39, 0x36a6b08e, v17
	v_fmac_f16_e32 v44, 0x3abb, v19
	v_add_f16_e32 v36, v37, v36
	v_add_f16_e32 v37, v50, v0
	v_add_f16_sdwa v24, v24, v0 dst_sel:DWORD dst_unused:UNUSED_PAD src0_sel:DWORD src1_sel:WORD_1
	v_fma_f16 v23, v23, 0xbbad, -v61
	v_pk_add_f16 v1, v9, v1
	v_add_f16_e32 v32, v35, v32
	v_add_f16_e32 v37, v56, v37
	v_pk_mul_f16 v35, 0xb93dbbad, v18
	v_fma_f16 v48, v22, 0x3abb, -v48
	v_fmac_f16_e32 v45, 0xbbad, v21
	v_add_f16_e32 v23, v23, v24
	v_add_f16_e32 v37, v44, v37
	v_pk_fma_f16 v44, 0xbbebbb47, v11, v39 op_sel:[0,0,1] op_sel_hi:[1,1,0]
	v_fma_f16 v22, v22, 0x36a6, -v64
	v_pk_add_f16 v1, v6, v1
	v_pk_mul_f16 v41, 0xbbad36a6, v19
	v_add_f16_e32 v36, v48, v36
	v_fma_f16 v24, v25, 0xbbad, -v49
	v_alignbit_b32 v48, s0, v44, 16
	v_pk_fma_f16 v49, 0x3482ba0c, v12, v35 op_sel:[0,0,1] op_sel_hi:[1,1,0]
	v_add_f16_e32 v37, v45, v37
	v_add_f16_e32 v22, v22, v23
	v_fma_f16 v23, v25, 0x3abb, -v65
	v_fmac_f16_e32 v55, 0x36a6, v20
	v_pk_add_f16 v1, v7, v1
	v_pk_add_f16 v25, v48, v0
	v_alignbit_b32 v45, s0, v49, 16
	v_pk_fma_f16 v48, 0x3b473482, v13, v41 op_sel:[0,0,1] op_sel_hi:[1,1,0]
	v_add_f16_e32 v22, v23, v22
	v_fma_f16 v23, v26, 0xb93d, -v62
	v_add_f16_e32 v26, v55, v37
	v_pk_fma_f16 v37, 0xbbebbb47, v11, v39 op_sel:[0,0,1] op_sel_hi:[1,1,0] neg_lo:[0,1,0] neg_hi:[0,1,0]
	v_pk_add_f16 v1, v4, v1
	v_pk_add_f16 v25, v45, v25
	v_alignbit_b32 v8, s0, v48, 16
	v_pk_fma_f16 v9, 0x3482ba0c, v12, v35 op_sel:[0,0,1] op_sel_hi:[1,1,0] neg_lo:[0,1,0] neg_hi:[0,1,0]
	v_add_f16_e32 v32, v33, v32
	v_pk_add_f16 v1, v5, v1
	v_bfi_b32 v5, 0xffff, v44, v37
	v_pk_mul_f16 v33, 0xb08e3abb, v21
	v_add_f16_e32 v22, v23, v22
	v_pk_add_f16 v8, v8, v25
	v_add_f16_sdwa v23, v37, v0 dst_sel:DWORD dst_unused:UNUSED_PAD src0_sel:DWORD src1_sel:WORD_1
	v_pk_fma_f16 v25, 0x3b473482, v13, v41 op_sel:[0,0,1] op_sel_hi:[1,1,0] neg_lo:[0,1,0] neg_hi:[0,1,0]
	v_pk_add_f16 v1, v2, v1
	v_pk_add_f16 v2, v5, v0 op_sel:[0,1] op_sel_hi:[1,0]
	v_bfi_b32 v5, 0xffff, v49, v9
	v_fmac_f16_e32 v42, 0x36a6, v17
	v_pk_fma_f16 v6, 0xb8533beb, v14, v33 op_sel:[0,0,1] op_sel_hi:[1,1,0]
	v_add_f16_e32 v23, v9, v23
	v_pk_fma_f16 v33, 0xb8533beb, v14, v33 op_sel:[0,0,1] op_sel_hi:[1,1,0] neg_lo:[0,1,0] neg_hi:[0,1,0]
	v_pk_add_f16 v1, v3, v1
	v_pk_add_f16 v2, v5, v2
	v_bfi_b32 v3, 0xffff, v48, v25
	v_pk_mul_f16 v5, 0xbbad, v17 op_sel_hi:[0,1]
	v_pk_mul_f16 v46, 0x3abbb93d, v20
	v_add_f16_e32 v35, v42, v0
	v_fmac_f16_e32 v43, 0xb93d, v18
	v_add_f16_e32 v23, v25, v23
	v_mov_b32_e32 v9, 2
	v_pk_add_f16 v1, v10, v1
	v_pk_add_f16 v2, v3, v2
	v_pk_fma_f16 v3, 0xb482, v11, v5 op_sel:[0,0,1] op_sel_hi:[0,1,0] neg_lo:[0,1,0] neg_hi:[0,1,0]
	v_pk_mul_f16 v10, 0x3abb, v18 op_sel_hi:[0,1]
	v_bfi_b32 v17, 0xffff, v6, v33
	v_alignbit_b32 v7, s0, v0, 16
	v_add_f16_e32 v4, v43, v35
	v_pk_fma_f16 v35, 0xba0c3853, v15, v46 op_sel:[0,0,1] op_sel_hi:[1,1,0] neg_lo:[0,1,0] neg_hi:[0,1,0]
	v_add_f16_e32 v23, v33, v23
	v_lshlrev_b32_sdwa v9, v9, v29 dst_sel:DWORD dst_unused:UNUSED_PAD src0_sel:DWORD src1_sel:WORD_0
	v_pack_b32_f16 v18, v32, v34
	v_pk_fma_f16 v25, 0xba0c3853, v15, v46 op_sel:[0,0,1] op_sel_hi:[1,1,0]
	v_alignbit_b32 v32, s0, v3, 16
	v_pk_fma_f16 v33, 0x3853, v12, v10 op_sel:[0,0,1] op_sel_hi:[0,1,0] neg_lo:[0,1,0] neg_hi:[0,1,0]
	v_pk_add_f16 v2, v17, v2
	v_pk_mul_f16 v17, 0xb93d, v19 op_sel_hi:[0,1]
	v_pk_fma_f16 v5, 0xb482, v11, v5 op_sel:[0,0,1] op_sel_hi:[0,1,0]
	v_fmac_f16_e32 v60, 0xbbad, v19
	v_bfi_b32 v19, 0xffff, v25, v35
	v_pk_add_f16 v25, v32, v0
	v_alignbit_b32 v32, s0, v33, 16
	ds_write2_b32 v9, v1, v18 offset1:1
	v_pk_fma_f16 v1, 0xba0c, v13, v17 op_sel:[0,0,1] op_sel_hi:[0,1,0] neg_lo:[0,1,0] neg_hi:[0,1,0]
	v_pk_mul_f16 v18, 0x36a6, v21 op_sel_hi:[0,1]
	v_pk_add_f16 v3, v3, v7
	v_pk_add_f16 v0, v5, v0 op_sel:[0,1] op_sel_hi:[1,0]
	v_pk_fma_f16 v5, 0x3853, v12, v10 op_sel:[0,0,1] op_sel_hi:[0,1,0]
	v_fmac_f16_e32 v52, 0xb08e, v21
	v_fmac_f16_e32 v63, 0x3abb, v20
	v_pk_add_f16 v2, v19, v2
	v_pk_add_f16 v19, v32, v25
	v_alignbit_b32 v11, s0, v1, 16
	v_pk_fma_f16 v21, 0x3b47, v14, v18 op_sel:[0,0,1] op_sel_hi:[0,1,0] neg_lo:[0,1,0] neg_hi:[0,1,0]
	v_pk_mul_f16 v20, 0xb08e, v20 op_sel_hi:[0,1]
	v_pk_add_f16 v3, v33, v3
	v_pk_add_f16 v0, v5, v0
	v_pk_fma_f16 v5, 0xba0c, v13, v17 op_sel:[0,0,1] op_sel_hi:[0,1,0]
	v_mul_f16_e32 v38, 0x3b47, v15
	v_pk_mul_f16 v47, 0xba0c3853, v15
	v_lshlrev_b32_e32 v8, 16, v8
	v_pk_add_f16 v7, v11, v19
	v_alignbit_b32 v10, s0, v21, 16
	v_pk_fma_f16 v11, 0xbbeb, v15, v20 op_sel:[0,0,1] op_sel_hi:[0,1,0] neg_lo:[0,1,0] neg_hi:[0,1,0]
	v_pk_add_f16 v1, v1, v3
	v_pk_add_f16 v0, v5, v0
	v_pk_fma_f16 v3, 0x3b47, v14, v18 op_sel:[0,0,1] op_sel_hi:[0,1,0]
	v_pk_add_f16 v5, v53, v38 neg_lo:[0,1] neg_hi:[0,1]
	v_pk_add_f16 v6, v6, v8
	v_pack_b32_f16 v8, v24, v46
	v_bfi_b32 v12, 0xffff, v36, v47
	v_add_f16_e32 v4, v60, v4
	v_pk_add_f16 v7, v10, v7
	v_alignbit_b32 v10, s0, v11, 16
	v_pk_add_f16 v1, v21, v1
	v_pk_add_f16 v0, v3, v0
	v_pk_fma_f16 v3, 0xbbeb, v15, v20 op_sel:[0,0,1] op_sel_hi:[0,1,0]
	v_bfi_b32 v5, 0xffff, v5, v6
	v_pk_add_f16 v6, v8, v12
	v_add_f16_e32 v4, v52, v4
	v_pk_add_f16 v1, v11, v1
	v_pk_add_f16 v0, v3, v0
	;; [unrolled: 1-line block ×4, first 2 shown]
	v_add_f16_e32 v23, v35, v23
	v_add_f16_e32 v4, v63, v4
	v_alignbit_b32 v8, v57, v2, 16
	v_pack_b32_f16 v2, v40, v2
	v_pack_b32_f16 v6, v54, v51
	v_alignbit_b32 v1, v1, v0, 16
	v_pack_b32_f16 v0, v3, v0
	v_alignbit_b32 v3, v22, v5, 16
	v_pack_b32_f16 v5, v26, v5
	v_pack_b32_f16 v4, v4, v23
	v_perm_b32 v7, v31, v30, 0x5040100
	ds_write2_b32 v9, v2, v8 offset0:2 offset1:3
	ds_write_b32 v9, v6 offset:16
	ds_write2_b32 v9, v0, v1 offset0:5 offset1:6
	ds_write2_b32 v9, v5, v3 offset0:7 offset1:8
	;; [unrolled: 1-line block ×3, first 2 shown]
.LBB0_7:
	s_or_b32 exec_lo, exec_lo, s4
	v_and_b32_e32 v0, 0xff, v28
	s_load_dwordx4 s[4:7], s[2:3], 0x0
	s_waitcnt lgkmcnt(0)
	s_barrier
	buffer_gl0_inv
	v_mul_lo_u16 v0, 0x75, v0
	v_add_nc_u32_e32 v36, 0x200, v27
	v_add_nc_u32_e32 v37, 0x400, v27
	v_mov_b32_e32 v22, 0x6e
	v_lshlrev_b32_e32 v21, 4, v28
	v_lshrrev_b16 v0, 8, v0
	v_sub_nc_u16 v1, v28, v0
	v_lshrrev_b16 v1, 1, v1
	v_and_b32_e32 v1, 0x7f, v1
	v_add_nc_u16 v0, v1, v0
	v_lshrrev_b16 v19, 3, v0
	v_mul_lo_u16 v0, v19, 11
	v_mul_u32_u24_sdwa v19, v19, v22 dst_sel:DWORD dst_unused:UNUSED_PAD src0_sel:WORD_0 src1_sel:DWORD
	v_sub_nc_u16 v0, v28, v0
	v_and_b32_e32 v20, 0xff, v0
	v_mad_u64_u32 v[8:9], null, v20, 36, s[0:1]
	v_add_lshl_u32 v32, v19, v20, 2
	s_clause 0x2
	global_load_dwordx4 v[4:7], v[8:9], off
	global_load_dwordx4 v[0:3], v[8:9], off offset:16
	global_load_dword v33, v[8:9], off offset:32
	ds_read2_b32 v[8:9], v27 offset1:55
	ds_read2_b32 v[10:11], v27 offset0:110 offset1:165
	ds_read2_b32 v[12:13], v36 offset0:92 offset1:147
	;; [unrolled: 1-line block ×4, first 2 shown]
	s_waitcnt vmcnt(0) lgkmcnt(0)
	s_barrier
	buffer_gl0_inv
	v_lshrrev_b32_e32 v34, 16, v12
	v_lshrrev_b32_e32 v24, 16, v9
	;; [unrolled: 1-line block ×10, first 2 shown]
	v_mul_f16_sdwa v19, v24, v4 dst_sel:DWORD dst_unused:UNUSED_PAD src0_sel:DWORD src1_sel:WORD_1
	v_mul_f16_sdwa v20, v9, v4 dst_sel:DWORD dst_unused:UNUSED_PAD src0_sel:DWORD src1_sel:WORD_1
	;; [unrolled: 1-line block ×18, first 2 shown]
	v_fma_f16 v9, v9, v4, -v19
	v_fmac_f16_e32 v20, v24, v4
	v_fma_f16 v10, v10, v5, -v41
	v_fmac_f16_e32 v42, v25, v5
	;; [unrolled: 2-line block ×9, first 2 shown]
	v_add_f16_e32 v19, v8, v10
	v_add_f16_e32 v22, v12, v14
	v_sub_f16_e32 v26, v10, v12
	v_sub_f16_e32 v34, v17, v14
	;; [unrolled: 1-line block ×4, first 2 shown]
	v_add_f16_e32 v40, v23, v42
	v_sub_f16_e32 v45, v42, v46
	v_sub_f16_e32 v47, v54, v50
	v_add_f16_e32 v53, v9, v11
	v_add_f16_e32 v55, v13, v15
	;; [unrolled: 1-line block ×6, first 2 shown]
	v_sub_f16_e32 v24, v42, v54
	v_sub_f16_e32 v25, v46, v50
	v_add_f16_e32 v35, v10, v17
	v_add_f16_e32 v41, v46, v50
	v_sub_f16_e32 v43, v12, v14
	v_add_f16_e32 v49, v42, v54
	v_sub_f16_e32 v42, v46, v42
	v_sub_f16_e32 v57, v44, v56
	;; [unrolled: 1-line block ×6, first 2 shown]
	v_add_f16_e32 v12, v19, v12
	v_fma_f16 v19, -0.5, v22, v8
	v_add_f16_e32 v22, v26, v34
	v_add_f16_e32 v26, v38, v39
	;; [unrolled: 1-line block ×5, first 2 shown]
	v_fma_f16 v40, -0.5, v55, v9
	v_add_f16_e32 v45, v64, v48
	v_fma_f16 v46, -0.5, v65, v20
	v_sub_f16_e32 v51, v50, v54
	v_sub_f16_e32 v58, v48, v52
	v_fmac_f16_e32 v9, -0.5, v61
	v_fmac_f16_e32 v20, -0.5, v69
	v_sub_f16_e32 v60, v18, v15
	v_sub_f16_e32 v63, v15, v18
	;; [unrolled: 1-line block ×5, first 2 shown]
	v_fmac_f16_e32 v8, -0.5, v35
	v_fma_f16 v35, -0.5, v41, v23
	v_fmac_f16_e32 v23, -0.5, v49
	v_add_f16_e32 v13, v13, v15
	v_fmamk_f16 v15, v57, 0x3b9c, v40
	v_add_f16_e32 v45, v45, v52
	v_fmamk_f16 v52, v11, 0xbb9c, v46
	v_sub_f16_e32 v44, v48, v44
	v_add_f16_e32 v39, v42, v51
	v_fmamk_f16 v51, v58, 0xbb9c, v9
	v_fmac_f16_e32 v9, 0x3b9c, v58
	v_fmamk_f16 v53, v66, 0x3b9c, v20
	v_fmac_f16_e32 v20, 0xbb9c, v66
	v_sub_f16_e32 v10, v10, v17
	v_fmac_f16_e32 v40, 0xbb9c, v57
	v_fmac_f16_e32 v46, 0x3b9c, v11
	v_add_f16_e32 v41, v59, v60
	v_add_f16_e32 v47, v67, v68
	v_add_f16_e32 v12, v12, v14
	v_add_f16_e32 v34, v34, v50
	v_fmamk_f16 v50, v43, 0x3b9c, v23
	v_fmac_f16_e32 v23, 0xbb9c, v43
	v_fmac_f16_e32 v15, 0x38b4, v58
	;; [unrolled: 1-line block ×3, first 2 shown]
	v_add_f16_e32 v42, v62, v63
	v_add_f16_e32 v44, v44, v70
	v_fmamk_f16 v14, v24, 0x3b9c, v19
	v_fmac_f16_e32 v19, 0xbb9c, v24
	v_fmamk_f16 v48, v25, 0xbb9c, v8
	v_fmac_f16_e32 v8, 0x3b9c, v25
	v_fmac_f16_e32 v51, 0x38b4, v57
	;; [unrolled: 1-line block ×5, first 2 shown]
	v_fmamk_f16 v49, v10, 0xbb9c, v35
	v_fmac_f16_e32 v35, 0x3b9c, v10
	v_fmac_f16_e32 v40, 0xb8b4, v58
	;; [unrolled: 1-line block ×3, first 2 shown]
	v_add_f16_e32 v12, v12, v17
	v_add_f16_e32 v17, v34, v54
	v_fmac_f16_e32 v50, 0xb8b4, v10
	v_fmac_f16_e32 v23, 0x38b4, v10
	v_add_f16_e32 v10, v13, v18
	v_add_f16_e32 v13, v45, v56
	v_fmac_f16_e32 v15, 0x34f2, v41
	v_fmac_f16_e32 v52, 0x34f2, v47
	;; [unrolled: 1-line block ×14, first 2 shown]
	v_add_f16_e32 v11, v12, v10
	v_add_f16_e32 v18, v17, v13
	v_sub_f16_e32 v10, v12, v10
	v_sub_f16_e32 v12, v17, v13
	v_mul_f16_e32 v13, 0x38b4, v52
	v_mul_f16_e32 v25, 0xb8b4, v15
	v_fmac_f16_e32 v14, 0x34f2, v22
	v_fmac_f16_e32 v19, 0x34f2, v22
	;; [unrolled: 1-line block ×4, first 2 shown]
	v_mul_f16_e32 v17, 0x3b9c, v53
	v_mul_f16_e32 v22, 0x34f2, v9
	;; [unrolled: 1-line block ×4, first 2 shown]
	v_fmac_f16_e32 v49, 0x34f2, v38
	v_fmac_f16_e32 v35, 0x34f2, v38
	v_mul_f16_e32 v24, 0x3a79, v40
	v_mul_f16_e32 v38, 0x3a79, v46
	v_fmac_f16_e32 v13, 0x3a79, v15
	v_fmac_f16_e32 v25, 0x3a79, v52
	;; [unrolled: 1-line block ×4, first 2 shown]
	v_pack_b32_f16 v10, v10, v12
	v_fmac_f16_e32 v17, 0x34f2, v51
	v_fma_f16 v12, v20, 0x3b9c, -v22
	v_fmac_f16_e32 v26, 0x34f2, v53
	v_fma_f16 v9, v9, 0xbb9c, -v34
	v_pack_b32_f16 v11, v11, v18
	v_fma_f16 v15, v46, 0x38b4, -v24
	v_fma_f16 v18, v40, 0xb8b4, -v38
	v_add_f16_e32 v20, v14, v13
	v_add_f16_e32 v38, v49, v25
	;; [unrolled: 1-line block ×8, first 2 shown]
	v_sub_f16_e32 v13, v14, v13
	v_sub_f16_e32 v14, v48, v17
	;; [unrolled: 1-line block ×8, first 2 shown]
	v_pack_b32_f16 v19, v20, v38
	v_pack_b32_f16 v20, v22, v39
	;; [unrolled: 1-line block ×8, first 2 shown]
	ds_write2_b32 v32, v11, v19 offset1:11
	ds_write2_b32 v32, v20, v22 offset0:22 offset1:33
	ds_write2_b32 v32, v23, v10 offset0:44 offset1:55
	;; [unrolled: 1-line block ×4, first 2 shown]
	v_add_nc_u32_e32 v8, 0x370, v21
	s_waitcnt lgkmcnt(0)
	s_barrier
	buffer_gl0_inv
	s_clause 0x1
	global_load_dwordx4 v[12:15], v21, s[0:1] offset:396
	global_load_dwordx4 v[8:11], v8, s[0:1] offset:396
	ds_read2_b32 v[18:19], v27 offset1:55
	ds_read2_b32 v[20:21], v27 offset0:110 offset1:165
	ds_read2_b32 v[22:23], v36 offset0:92 offset1:147
	ds_read2_b32 v[24:25], v37 offset0:74 offset1:129
	ds_read2_b32 v[39:40], v37 offset0:184 offset1:239
	s_waitcnt lgkmcnt(4)
	v_lshrrev_b32_e32 v38, 16, v18
	s_waitcnt lgkmcnt(3)
	v_lshrrev_b32_e32 v17, 16, v20
	;; [unrolled: 2-line block ×5, first 2 shown]
	v_lshrrev_b32_e32 v42, 16, v21
	v_lshrrev_b32_e32 v43, 16, v23
	;; [unrolled: 1-line block ×5, first 2 shown]
	s_waitcnt vmcnt(1)
	v_mul_f16_sdwa v46, v17, v12 dst_sel:DWORD dst_unused:UNUSED_PAD src0_sel:DWORD src1_sel:WORD_1
	v_mul_f16_sdwa v47, v20, v12 dst_sel:DWORD dst_unused:UNUSED_PAD src0_sel:DWORD src1_sel:WORD_1
	;; [unrolled: 1-line block ×8, first 2 shown]
	s_waitcnt vmcnt(0)
	v_mul_f16_sdwa v54, v42, v8 dst_sel:DWORD dst_unused:UNUSED_PAD src0_sel:DWORD src1_sel:WORD_1
	v_mul_f16_sdwa v56, v43, v9 dst_sel:DWORD dst_unused:UNUSED_PAD src0_sel:DWORD src1_sel:WORD_1
	;; [unrolled: 1-line block ×8, first 2 shown]
	v_fma_f16 v20, v20, v12, -v46
	v_fmac_f16_e32 v47, v17, v12
	v_fma_f16 v17, v22, v13, -v48
	v_fmac_f16_e32 v49, v26, v13
	;; [unrolled: 2-line block ×4, first 2 shown]
	v_fma_f16 v21, v21, v8, -v54
	v_fma_f16 v35, v23, v9, -v56
	v_fmac_f16_e32 v57, v43, v9
	v_fma_f16 v41, v25, v10, -v58
	v_fmac_f16_e32 v59, v44, v10
	v_fmac_f16_e32 v55, v42, v8
	v_fma_f16 v43, v40, v11, -v60
	v_fmac_f16_e32 v61, v45, v11
	v_add_f16_e32 v23, v18, v20
	v_add_f16_e32 v25, v17, v22
	v_sub_f16_e32 v26, v20, v17
	v_sub_f16_e32 v39, v24, v22
	v_add_f16_e32 v40, v20, v24
	v_sub_f16_e32 v42, v17, v20
	v_sub_f16_e32 v44, v22, v24
	v_add_f16_e32 v45, v38, v47
	v_add_f16_e32 v50, v49, v51
	v_sub_f16_e32 v52, v20, v24
	v_sub_f16_e32 v20, v47, v49
	;; [unrolled: 1-line block ×3, first 2 shown]
	v_add_f16_e32 v62, v19, v21
	v_add_f16_e32 v63, v35, v41
	v_add_f16_e32 v72, v57, v59
	v_add_f16_e32 v58, v47, v53
	v_add_f16_e32 v68, v21, v43
	v_add_f16_e32 v76, v55, v61
	v_add_f16_e32 v71, v34, v55
	v_sub_f16_e32 v46, v47, v53
	v_sub_f16_e32 v48, v49, v51
	;; [unrolled: 1-line block ×12, first 2 shown]
	v_add_f16_e32 v17, v23, v17
	v_fma_f16 v23, -0.5, v25, v18
	v_add_f16_e32 v78, v26, v39
	v_fma_f16 v26, -0.5, v40, v18
	v_add_f16_e32 v79, v42, v44
	v_add_f16_e32 v40, v45, v49
	v_fma_f16 v42, -0.5, v50, v38
	v_add_f16_e32 v49, v20, v56
	v_add_f16_e32 v35, v62, v35
	v_fma_f16 v20, -0.5, v63, v19
	v_fma_f16 v39, -0.5, v72, v34
	v_sub_f16_e32 v65, v57, v59
	v_fmac_f16_e32 v38, -0.5, v58
	v_fmac_f16_e32 v19, -0.5, v68
	;; [unrolled: 1-line block ×3, first 2 shown]
	v_sub_f16_e32 v55, v57, v55
	v_add_f16_e32 v57, v71, v57
	v_sub_f16_e32 v67, v43, v41
	v_sub_f16_e32 v70, v41, v43
	v_add_f16_e32 v47, v47, v60
	v_add_f16_e32 v58, v21, v75
	v_fmamk_f16 v18, v46, 0x3b9c, v23
	v_fmamk_f16 v45, v52, 0xbb9c, v42
	v_add_f16_e32 v60, v35, v41
	v_fmamk_f16 v21, v64, 0x3b9c, v20
	v_fmamk_f16 v41, v73, 0xbb9c, v39
	v_sub_f16_e32 v77, v59, v61
	v_add_f16_e32 v17, v17, v22
	v_fmamk_f16 v25, v48, 0xbb9c, v26
	v_add_f16_e32 v51, v40, v51
	v_fmamk_f16 v44, v54, 0x3b9c, v38
	v_fmamk_f16 v22, v65, 0xbb9c, v19
	;; [unrolled: 1-line block ×3, first 2 shown]
	v_fmac_f16_e32 v26, 0x3b9c, v48
	v_fmac_f16_e32 v38, 0xbb9c, v54
	;; [unrolled: 1-line block ×8, first 2 shown]
	v_add_f16_e32 v57, v57, v59
	v_add_f16_e32 v50, v66, v67
	v_fmac_f16_e32 v18, 0x38b4, v48
	v_fmac_f16_e32 v45, 0xb8b4, v54
	;; [unrolled: 1-line block ×4, first 2 shown]
	v_add_f16_e32 v56, v69, v70
	v_add_f16_e32 v55, v55, v77
	v_fmac_f16_e32 v25, 0x38b4, v46
	v_fmac_f16_e32 v44, 0xb8b4, v52
	;; [unrolled: 1-line block ×12, first 2 shown]
	v_add_f16_e32 v17, v17, v24
	v_add_f16_e32 v35, v51, v53
	;; [unrolled: 1-line block ×4, first 2 shown]
	v_fmac_f16_e32 v18, 0x34f2, v78
	v_fmac_f16_e32 v45, 0x34f2, v49
	;; [unrolled: 1-line block ×16, first 2 shown]
	v_pack_b32_f16 v46, v17, v35
	v_pack_b32_f16 v47, v24, v43
	v_pack_b32_f16 v48, v18, v45
	v_pack_b32_f16 v52, v21, v41
	v_pack_b32_f16 v49, v25, v44
	v_pack_b32_f16 v53, v22, v40
	v_pack_b32_f16 v50, v26, v38
	v_pack_b32_f16 v54, v19, v34
	v_pack_b32_f16 v51, v23, v42
	v_pack_b32_f16 v55, v20, v39
	ds_write2_b32 v27, v46, v47 offset1:55
	ds_write2_b32 v27, v48, v52 offset0:110 offset1:165
	ds_write2_b32 v36, v49, v53 offset0:92 offset1:147
	;; [unrolled: 1-line block ×4, first 2 shown]
	s_waitcnt lgkmcnt(0)
	s_barrier
	buffer_gl0_inv
	s_and_saveexec_b32 s1, vcc_lo
	s_cbranch_execz .LBB0_9
; %bb.8:
	v_add_co_u32 v48, s0, s20, v27
	v_add_co_ci_u32_e64 v49, null, s21, 0, s0
	v_add_co_u32 v46, s0, 0x800, v48
	v_add_co_ci_u32_e64 v47, s0, 0, v49, s0
	global_load_dword v50, v[46:47], off offset:152
	v_add_co_u32 v46, s0, 0x898, v48
	v_add_co_ci_u32_e64 v47, s0, 0, v49, s0
	s_clause 0x9
	global_load_dword v56, v[46:47], off offset:200
	global_load_dword v57, v[46:47], off offset:400
	;; [unrolled: 1-line block ×10, first 2 shown]
	ds_read_b32 v46, v27
	s_waitcnt lgkmcnt(0)
	v_lshrrev_b32_e32 v47, 16, v46
	s_waitcnt vmcnt(10)
	v_mul_f16_sdwa v48, v47, v50 dst_sel:DWORD dst_unused:UNUSED_PAD src0_sel:DWORD src1_sel:WORD_1
	v_mul_f16_sdwa v49, v46, v50 dst_sel:DWORD dst_unused:UNUSED_PAD src0_sel:DWORD src1_sel:WORD_1
	v_fma_f16 v46, v46, v50, -v48
	v_fmac_f16_e32 v49, v47, v50
	v_pack_b32_f16 v46, v46, v49
	ds_write_b32 v27, v46
	ds_read2_b32 v[46:47], v27 offset0:50 offset1:100
	ds_read2_b32 v[48:49], v27 offset0:150 offset1:200
	;; [unrolled: 1-line block ×5, first 2 shown]
	s_waitcnt lgkmcnt(4)
	v_lshrrev_b32_e32 v66, 16, v46
	s_waitcnt vmcnt(9)
	v_mul_f16_sdwa v67, v46, v56 dst_sel:DWORD dst_unused:UNUSED_PAD src0_sel:DWORD src1_sel:WORD_1
	v_lshrrev_b32_e32 v68, 16, v47
	s_waitcnt vmcnt(8)
	v_mul_f16_sdwa v69, v47, v57 dst_sel:DWORD dst_unused:UNUSED_PAD src0_sel:DWORD src1_sel:WORD_1
	s_waitcnt lgkmcnt(3)
	v_lshrrev_b32_e32 v70, 16, v48
	s_waitcnt vmcnt(7)
	v_mul_f16_sdwa v71, v48, v58 dst_sel:DWORD dst_unused:UNUSED_PAD src0_sel:DWORD src1_sel:WORD_1
	v_lshrrev_b32_e32 v72, 16, v49
	s_waitcnt vmcnt(6)
	v_mul_f16_sdwa v73, v49, v59 dst_sel:DWORD dst_unused:UNUSED_PAD src0_sel:DWORD src1_sel:WORD_1
	;; [unrolled: 7-line block ×4, first 2 shown]
	s_waitcnt lgkmcnt(0)
	v_lshrrev_b32_e32 v82, 16, v54
	s_waitcnt vmcnt(1)
	v_mul_f16_sdwa v83, v54, v64 dst_sel:DWORD dst_unused:UNUSED_PAD src0_sel:DWORD src1_sel:WORD_1
	v_lshrrev_b32_e32 v84, 16, v55
	v_mul_f16_sdwa v86, v66, v56 dst_sel:DWORD dst_unused:UNUSED_PAD src0_sel:DWORD src1_sel:WORD_1
	v_fmac_f16_e32 v67, v66, v56
	v_mul_f16_sdwa v66, v68, v57 dst_sel:DWORD dst_unused:UNUSED_PAD src0_sel:DWORD src1_sel:WORD_1
	v_fmac_f16_e32 v69, v68, v57
	;; [unrolled: 2-line block ×7, first 2 shown]
	v_mul_f16_sdwa v78, v80, v63 dst_sel:DWORD dst_unused:UNUSED_PAD src0_sel:DWORD src1_sel:WORD_1
	s_waitcnt vmcnt(0)
	v_mul_f16_sdwa v85, v55, v65 dst_sel:DWORD dst_unused:UNUSED_PAD src0_sel:DWORD src1_sel:WORD_1
	v_fmac_f16_e32 v81, v80, v63
	v_mul_f16_sdwa v80, v82, v64 dst_sel:DWORD dst_unused:UNUSED_PAD src0_sel:DWORD src1_sel:WORD_1
	v_fmac_f16_e32 v83, v82, v64
	v_mul_f16_sdwa v82, v84, v65 dst_sel:DWORD dst_unused:UNUSED_PAD src0_sel:DWORD src1_sel:WORD_1
	v_fma_f16 v46, v46, v56, -v86
	v_fma_f16 v47, v47, v57, -v66
	;; [unrolled: 1-line block ×8, first 2 shown]
	v_fmac_f16_e32 v85, v84, v65
	v_fma_f16 v54, v54, v64, -v80
	v_fma_f16 v55, v55, v65, -v82
	v_pack_b32_f16 v46, v46, v67
	v_pack_b32_f16 v47, v47, v69
	;; [unrolled: 1-line block ×10, first 2 shown]
	ds_write2_b32 v27, v46, v47 offset0:50 offset1:100
	ds_write2_b32 v27, v48, v49 offset0:150 offset1:200
	;; [unrolled: 1-line block ×5, first 2 shown]
.LBB0_9:
	s_or_b32 exec_lo, exec_lo, s1
	s_waitcnt lgkmcnt(0)
	s_barrier
	buffer_gl0_inv
	s_and_saveexec_b32 s0, vcc_lo
	s_cbranch_execz .LBB0_11
; %bb.10:
	v_add_nc_u32_e32 v19, 0x400, v27
	ds_read2_b32 v[17:18], v27 offset1:50
	ds_read2_b32 v[25:26], v27 offset0:100 offset1:150
	ds_read2_b32 v[23:24], v27 offset0:200 offset1:250
	ds_read_b32 v30, v27 offset:2000
	ds_read2_b32 v[21:22], v19 offset0:44 offset1:94
	ds_read2_b32 v[19:20], v19 offset0:144 offset1:194
	s_waitcnt lgkmcnt(5)
	v_lshrrev_b32_e32 v35, 16, v17
	v_lshrrev_b32_e32 v45, 16, v18
	s_waitcnt lgkmcnt(4)
	v_lshrrev_b32_e32 v44, 16, v25
	v_lshrrev_b32_e32 v38, 16, v26
	;; [unrolled: 3-line block ×3, first 2 shown]
	s_waitcnt lgkmcnt(2)
	v_lshrrev_b32_e32 v31, 16, v30
	s_waitcnt lgkmcnt(1)
	v_lshrrev_b32_e32 v41, 16, v21
	v_lshrrev_b32_e32 v40, 16, v22
	s_waitcnt lgkmcnt(0)
	v_lshrrev_b32_e32 v34, 16, v19
	v_lshrrev_b32_e32 v39, 16, v20
.LBB0_11:
	s_or_b32 exec_lo, exec_lo, s0
	s_barrier
	buffer_gl0_inv
	s_and_saveexec_b32 s0, vcc_lo
	s_cbranch_execz .LBB0_13
; %bb.12:
	v_add_f16_e32 v59, v31, v45
	v_sub_f16_e32 v47, v18, v30
	v_add_f16_e32 v60, v39, v44
	v_sub_f16_e32 v37, v25, v20
	v_add_f16_e32 v61, v34, v38
	v_mul_f16_e32 v62, 0xbbad, v59
	v_sub_f16_e32 v46, v26, v19
	v_mul_f16_e32 v64, 0x3abb, v60
	v_add_f16_e32 v63, v40, v42
	v_sub_f16_e32 v66, v45, v31
	v_fmamk_f16 v48, v47, 0x3482, v62
	v_mul_f16_e32 v67, 0xb93d, v61
	v_fmamk_f16 v50, v37, 0xb853, v64
	v_sub_f16_e32 v36, v23, v22
	v_add_f16_e32 v65, v41, v43
	v_add_f16_e32 v48, v35, v48
	;; [unrolled: 1-line block ×3, first 2 shown]
	v_mul_f16_e32 v68, 0x36a6, v63
	v_mul_f16_e32 v69, 0xb482, v66
	v_fmamk_f16 v51, v46, 0x3a0c, v67
	v_add_f16_e32 v48, v50, v48
	v_sub_f16_e32 v70, v44, v39
	v_add_f16_e32 v50, v20, v25
	v_fmamk_f16 v53, v36, 0xbb47, v68
	v_fmamk_f16 v52, v49, 0xbbad, v69
	v_add_f16_e32 v51, v51, v48
	v_mul_f16_e32 v71, 0x3853, v70
	v_mul_f16_e32 v72, 0xb08e, v65
	v_sub_f16_e32 v73, v38, v34
	v_sub_f16_e32 v48, v24, v21
	v_mul_f16_e32 v75, 0xb93d, v59
	v_add_f16_e32 v54, v17, v52
	v_fmamk_f16 v55, v50, 0x3abb, v71
	v_add_f16_e32 v52, v19, v26
	v_mul_f16_e32 v74, 0xba0c, v73
	v_add_f16_e32 v51, v53, v51
	v_fmamk_f16 v53, v48, 0x3beb, v72
	v_fmamk_f16 v56, v47, 0x3a0c, v75
	v_mul_f16_e32 v76, 0xb08e, v60
	v_add_f16_e32 v54, v55, v54
	v_fmamk_f16 v55, v52, 0xb93d, v74
	v_add_f16_e32 v51, v53, v51
	v_sub_f16_e32 v77, v42, v40
	v_add_f16_e32 v53, v35, v56
	v_fmamk_f16 v56, v37, 0xbbeb, v76
	v_mul_f16_e32 v78, 0x3abb, v61
	v_add_f16_e32 v55, v55, v54
	v_add_f16_e32 v54, v22, v23
	v_mul_f16_e32 v79, 0x3b47, v77
	v_sub_f16_e32 v80, v43, v41
	v_add_f16_e32 v56, v56, v53
	v_fmamk_f16 v57, v46, 0x3853, v78
	v_mul_f16_e32 v81, 0xbbad, v63
	v_fmamk_f16 v58, v54, 0x36a6, v79
	v_add_f16_e32 v53, v21, v24
	v_mul_f16_e32 v82, 0xbbeb, v80
	v_add_f16_e32 v56, v57, v56
	v_fmamk_f16 v57, v36, 0x3482, v81
	v_mul_f16_e32 v83, 0x36a6, v65
	v_add_f16_e32 v55, v58, v55
	v_fmamk_f16 v58, v53, 0xb08e, v82
	;; [unrolled: 3-line block ×19, first 2 shown]
	v_mul_f16_e32 v105, 0xb08e, v63
	v_mul_f16_e32 v106, 0xbb47, v66
	v_add_f16_e32 v88, v100, v88
	v_fmamk_f16 v100, v54, 0x3abb, v104
	v_mul_f16_e32 v107, 0xba0c, v80
	v_add_f16_e32 v90, v102, v90
	v_fmamk_f16 v102, v36, 0xbbeb, v105
	v_fmamk_f16 v109, v49, 0x36a6, v106
	v_mul_f16_e32 v110, 0xba0c, v70
	v_add_f16_e32 v18, v18, v17
	v_add_f16_e32 v88, v100, v88
	v_fmamk_f16 v100, v53, 0xb93d, v107
	v_add_f16_e32 v90, v102, v90
	v_add_f16_e32 v102, v17, v109
	v_fmamk_f16 v109, v50, 0xb93d, v110
	v_mul_f16_e32 v111, 0x3482, v73
	v_add_f16_e32 v18, v25, v18
	v_add_f16_e32 v88, v100, v88
	v_mul_f16_e32 v59, 0x3abb, v59
	v_add_f16_e32 v100, v109, v102
	v_fmamk_f16 v25, v52, 0xbbad, v111
	v_mul_f16_e32 v102, 0x3beb, v77
	v_add_f16_e32 v18, v26, v18
	v_fmamk_f16 v26, v47, 0x3853, v59
	;; [unrolled: 3-line block ×3, first 2 shown]
	v_add_f16_e32 v18, v23, v18
	v_mul_f16_e32 v23, 0x3853, v80
	v_add_f16_e32 v45, v45, v35
	v_add_f16_e32 v26, v35, v26
	v_fmamk_f16 v109, v37, 0x3b47, v60
	v_mul_f16_e32 v61, 0xb08e, v61
	v_add_f16_e32 v25, v100, v25
	v_add_f16_e32 v18, v24, v18
	v_fmamk_f16 v24, v53, 0x3abb, v23
	;; [unrolled: 4-line block ×3, first 2 shown]
	v_add_f16_e32 v24, v24, v25
	v_mul_f16_e32 v25, 0xb93d, v63
	v_fmamk_f16 v45, v49, 0x3abb, v66
	v_mul_f16_e32 v63, 0xbb47, v70
	v_add_f16_e32 v38, v38, v44
	v_mul_f16_e32 v108, 0x3abb, v65
	v_add_f16_e32 v26, v100, v26
	v_fmamk_f16 v70, v36, 0x3a0c, v25
	v_mul_f16_e32 v65, 0xbbad, v65
	v_add_f16_e32 v44, v17, v45
	v_fmamk_f16 v45, v50, 0x36a6, v63
	v_mul_f16_e32 v73, 0xbbeb, v73
	v_add_f16_e32 v38, v42, v38
	v_add_f16_e32 v26, v70, v26
	v_fmamk_f16 v42, v48, 0x3482, v65
	v_add_f16_e32 v44, v45, v44
	v_fmamk_f16 v45, v52, 0xb08e, v73
	v_add_f16_e32 v18, v21, v18
	v_add_f16_e32 v21, v43, v38
	v_mul_f16_e32 v38, 0xba0c, v77
	v_add_f16_e32 v26, v42, v26
	v_add_f16_e32 v42, v45, v44
	;; [unrolled: 1-line block ×4, first 2 shown]
	v_fmac_f16_e32 v62, 0xb482, v47
	v_fmamk_f16 v22, v54, 0xb93d, v38
	v_mul_f16_e32 v41, 0xb482, v80
	v_add_f16_e32 v18, v19, v18
	v_add_f16_e32 v19, v40, v21
	;; [unrolled: 1-line block ×3, first 2 shown]
	v_fmac_f16_e32 v64, 0x3853, v37
	v_add_f16_e32 v22, v22, v42
	v_fmamk_f16 v40, v53, 0xbbad, v41
	v_add_f16_e32 v18, v20, v18
	v_add_f16_e32 v19, v34, v19
	;; [unrolled: 1-line block ×3, first 2 shown]
	v_fmac_f16_e32 v75, 0xba0c, v47
	v_add_f16_e32 v21, v40, v22
	v_fma_f16 v22, v49, 0xbbad, -v69
	v_add_f16_e32 v18, v30, v18
	v_add_f16_e32 v19, v39, v19
	v_fma_f16 v30, v50, 0x3abb, -v71
	v_fmac_f16_e32 v76, 0x3beb, v37
	v_add_f16_e32 v22, v17, v22
	v_fma_f16 v34, v49, 0xb93d, -v84
	v_add_f16_e32 v19, v31, v19
	v_add_f16_e32 v31, v35, v75
	v_fmac_f16_e32 v78, 0xb853, v46
	v_add_f16_e32 v22, v30, v22
	v_fma_f16 v30, v52, 0xb93d, -v74
	v_add_f16_e32 v34, v17, v34
	v_add_f16_e32 v31, v76, v31
	v_fma_f16 v39, v50, 0xb08e, -v86
	v_fmac_f16_e32 v81, 0xb482, v36
	v_add_f16_e32 v22, v30, v22
	v_fma_f16 v30, v54, 0x36a6, -v79
	v_add_f16_e32 v31, v78, v31
	v_add_f16_e32 v34, v39, v34
	v_fma_f16 v39, v52, 0x3abb, -v89
	v_fmac_f16_e32 v85, 0xbbeb, v47
	v_add_f16_e32 v22, v30, v22
	v_fma_f16 v30, v53, 0xb08e, -v82
	v_fmac_f16_e32 v87, 0x3482, v37
	v_fma_f16 v40, v49, 0xb08e, -v96
	v_fmac_f16_e32 v91, 0x3b47, v46
	v_fma_f16 v42, v50, 0xbbad, -v99
	v_add_f16_e32 v22, v30, v22
	v_add_f16_e32 v30, v81, v31
	;; [unrolled: 1-line block ×3, first 2 shown]
	v_fma_f16 v34, v54, 0xbbad, -v92
	v_add_f16_e32 v39, v35, v85
	v_add_f16_e32 v40, v17, v40
	v_fmac_f16_e32 v98, 0xbb47, v47
	v_fmac_f16_e32 v97, 0xba0c, v37
	v_add_f16_e32 v31, v34, v31
	v_fma_f16 v34, v53, 0x36a6, -v94
	v_add_f16_e32 v39, v87, v39
	v_fmac_f16_e32 v103, 0x3482, v46
	v_fmac_f16_e32 v105, 0x3beb, v36
	v_fma_f16 v43, v49, 0x36a6, -v106
	v_add_f16_e32 v31, v34, v31
	v_add_f16_e32 v34, v91, v39
	;; [unrolled: 1-line block ×3, first 2 shown]
	v_fma_f16 v40, v52, 0x36a6, -v101
	v_add_f16_e32 v42, v35, v98
	v_fmac_f16_e32 v59, 0xb853, v47
	v_add_f16_e32 v43, v17, v43
	v_fma_f16 v44, v50, 0xb93d, -v110
	v_add_f16_e32 v39, v40, v39
	v_fma_f16 v40, v54, 0x3abb, -v104
	v_add_f16_e32 v42, v97, v42
	v_add_f16_e32 v35, v35, v59
	v_fmac_f16_e32 v60, 0xbb47, v37
	v_fma_f16 v37, v50, 0x36a6, -v63
	v_add_f16_e32 v39, v40, v39
	v_fma_f16 v40, v53, 0xb93d, -v107
	v_add_f16_e32 v42, v103, v42
	v_fmac_f16_e32 v67, 0xba0c, v46
	v_add_f16_e32 v43, v44, v43
	v_fma_f16 v44, v52, 0xbbad, -v111
	v_add_f16_e32 v39, v40, v39
	v_add_f16_e32 v40, v105, v42
	v_fma_f16 v42, v49, 0x3abb, -v66
	v_add_f16_e32 v35, v60, v35
	v_fmac_f16_e32 v61, 0xbbeb, v46
	v_add_f16_e32 v20, v67, v20
	v_fmac_f16_e32 v68, 0x3b47, v36
	;; [unrolled: 2-line block ×3, first 2 shown]
	v_add_f16_e32 v42, v44, v43
	v_fma_f16 v43, v54, 0xb08e, -v102
	v_add_f16_e32 v35, v61, v35
	v_add_f16_e32 v17, v37, v17
	v_fma_f16 v37, v52, 0xb08e, -v73
	v_fmac_f16_e32 v25, 0xba0c, v36
	v_fma_f16 v36, v54, 0xb93d, -v38
	v_fmamk_f16 v112, v48, 0xb853, v108
	v_add_f16_e32 v20, v68, v20
	v_add_f16_e32 v17, v37, v17
	v_mov_b32_e32 v37, 2
	v_fmac_f16_e32 v72, 0xbbeb, v48
	v_fmac_f16_e32 v83, 0x3b47, v48
	v_add_f16_e32 v34, v93, v34
	v_fmac_f16_e32 v95, 0xba0c, v48
	v_fmac_f16_e32 v108, 0x3853, v48
	v_add_f16_e32 v42, v43, v42
	v_fma_f16 v23, v53, 0x3abb, -v23
	v_add_f16_e32 v25, v25, v35
	v_fmac_f16_e32 v65, 0xb482, v48
	v_add_f16_e32 v17, v36, v17
	v_fma_f16 v35, v53, 0xbbad, -v41
	v_add_f16_e32 v90, v112, v90
	v_lshlrev_b32_sdwa v29, v37, v29 dst_sel:DWORD dst_unused:UNUSED_PAD src0_sel:DWORD src1_sel:WORD_0
	v_pack_b32_f16 v21, v21, v26
	v_pack_b32_f16 v18, v18, v19
	v_add_f16_e32 v20, v72, v20
	v_add_f16_e32 v30, v83, v30
	;; [unrolled: 1-line block ×7, first 2 shown]
	ds_write2_b32 v29, v18, v21 offset1:1
	v_pack_b32_f16 v18, v88, v58
	v_pack_b32_f16 v21, v24, v90
	;; [unrolled: 1-line block ×9, first 2 shown]
	ds_write2_b32 v29, v21, v18 offset0:2 offset1:3
	ds_write2_b32 v29, v26, v24 offset0:4 offset1:5
	ds_write2_b32 v29, v20, v30 offset0:6 offset1:7
	ds_write2_b32 v29, v22, v19 offset0:8 offset1:9
	ds_write_b32 v29, v17 offset:40
.LBB0_13:
	s_or_b32 exec_lo, exec_lo, s0
	v_add_nc_u32_e32 v18, 0x200, v27
	v_add_nc_u32_e32 v17, 0x400, v27
	s_waitcnt lgkmcnt(0)
	s_barrier
	buffer_gl0_inv
	ds_read2_b32 v[19:20], v27 offset1:55
	ds_read2_b32 v[21:22], v27 offset0:110 offset1:165
	ds_read2_b32 v[23:24], v18 offset0:92 offset1:147
	;; [unrolled: 1-line block ×4, first 2 shown]
	s_waitcnt lgkmcnt(0)
	s_barrier
	buffer_gl0_inv
	v_lshrrev_b32_e32 v34, 16, v20
	v_lshrrev_b32_e32 v35, 16, v21
	;; [unrolled: 1-line block ×3, first 2 shown]
	v_mul_f16_sdwa v37, v4, v20 dst_sel:DWORD dst_unused:UNUSED_PAD src0_sel:WORD_1 src1_sel:DWORD
	v_mul_f16_sdwa v38, v5, v21 dst_sel:DWORD dst_unused:UNUSED_PAD src0_sel:WORD_1 src1_sel:DWORD
	;; [unrolled: 1-line block ×3, first 2 shown]
	v_lshrrev_b32_e32 v40, 16, v23
	v_lshrrev_b32_e32 v41, 16, v24
	;; [unrolled: 1-line block ×3, first 2 shown]
	v_mul_f16_sdwa v46, v4, v34 dst_sel:DWORD dst_unused:UNUSED_PAD src0_sel:WORD_1 src1_sel:DWORD
	v_fma_f16 v34, v4, v34, -v37
	v_mul_f16_sdwa v37, v5, v35 dst_sel:DWORD dst_unused:UNUSED_PAD src0_sel:WORD_1 src1_sel:DWORD
	v_fma_f16 v35, v5, v35, -v38
	;; [unrolled: 2-line block ×3, first 2 shown]
	v_mul_f16_sdwa v39, v7, v23 dst_sel:DWORD dst_unused:UNUSED_PAD src0_sel:WORD_1 src1_sel:DWORD
	v_mul_f16_sdwa v47, v7, v40 dst_sel:DWORD dst_unused:UNUSED_PAD src0_sel:WORD_1 src1_sel:DWORD
	v_lshrrev_b32_e32 v44, 16, v29
	v_fmac_f16_e32 v46, v4, v20
	v_fmac_f16_e32 v37, v5, v21
	;; [unrolled: 1-line block ×3, first 2 shown]
	v_mul_f16_sdwa v4, v0, v41 dst_sel:DWORD dst_unused:UNUSED_PAD src0_sel:WORD_1 src1_sel:DWORD
	v_fmac_f16_e32 v47, v7, v23
	v_fma_f16 v5, v7, v40, -v39
	v_mul_f16_sdwa v6, v0, v24 dst_sel:DWORD dst_unused:UNUSED_PAD src0_sel:WORD_1 src1_sel:DWORD
	v_mul_f16_sdwa v7, v1, v42 dst_sel:DWORD dst_unused:UNUSED_PAD src0_sel:WORD_1 src1_sel:DWORD
	v_lshrrev_b32_e32 v43, 16, v26
	v_fmac_f16_e32 v4, v0, v24
	v_mul_f16_sdwa v23, v3, v44 dst_sel:DWORD dst_unused:UNUSED_PAD src0_sel:WORD_1 src1_sel:DWORD
	v_fma_f16 v0, v0, v41, -v6
	v_fmac_f16_e32 v7, v1, v25
	v_mul_f16_sdwa v6, v3, v29 dst_sel:DWORD dst_unused:UNUSED_PAD src0_sel:WORD_1 src1_sel:DWORD
	v_lshrrev_b32_e32 v45, 16, v30
	v_mul_f16_sdwa v20, v1, v25 dst_sel:DWORD dst_unused:UNUSED_PAD src0_sel:WORD_1 src1_sel:DWORD
	v_mul_f16_sdwa v21, v2, v43 dst_sel:DWORD dst_unused:UNUSED_PAD src0_sel:WORD_1 src1_sel:DWORD
	v_add_f16_e32 v22, v47, v7
	v_fma_f16 v6, v3, v44, -v6
	v_fmac_f16_e32 v23, v3, v29
	v_lshrrev_b32_e32 v31, 16, v19
	v_fma_f16 v1, v1, v42, -v20
	v_fmac_f16_e32 v21, v2, v26
	v_mul_f16_sdwa v20, v2, v26 dst_sel:DWORD dst_unused:UNUSED_PAD src0_sel:WORD_1 src1_sel:DWORD
	v_mul_f16_sdwa v24, v33, v45 dst_sel:DWORD dst_unused:UNUSED_PAD src0_sel:WORD_1 src1_sel:DWORD
	v_add_f16_e32 v25, v19, v37
	v_fma_f16 v22, -0.5, v22, v19
	v_sub_f16_e32 v26, v35, v6
	v_add_f16_e32 v40, v37, v23
	v_fma_f16 v2, v2, v43, -v20
	v_fmac_f16_e32 v24, v33, v30
	v_add_f16_e32 v3, v25, v47
	v_fmamk_f16 v20, v26, 0xbb9c, v22
	v_sub_f16_e32 v25, v5, v1
	v_sub_f16_e32 v29, v37, v47
	;; [unrolled: 1-line block ×3, first 2 shown]
	v_mul_f16_sdwa v30, v33, v30 dst_sel:DWORD dst_unused:UNUSED_PAD src0_sel:WORD_1 src1_sel:DWORD
	v_fmac_f16_e32 v19, -0.5, v40
	v_fmac_f16_e32 v22, 0x3b9c, v26
	v_add_f16_e32 v41, v31, v35
	v_fmac_f16_e32 v20, 0xb8b4, v25
	v_add_f16_e32 v29, v29, v39
	v_fma_f16 v30, v33, v45, -v30
	v_fmamk_f16 v33, v25, 0x3b9c, v19
	v_fmac_f16_e32 v22, 0x38b4, v25
	v_fmac_f16_e32 v19, 0xbb9c, v25
	v_add_f16_e32 v25, v41, v5
	v_add_f16_e32 v3, v3, v7
	v_fmac_f16_e32 v20, 0x34f2, v29
	v_sub_f16_e32 v39, v47, v37
	v_sub_f16_e32 v40, v7, v23
	v_add_f16_e32 v42, v5, v1
	v_fmac_f16_e32 v22, 0x34f2, v29
	v_add_f16_e32 v25, v25, v1
	v_add_f16_e32 v29, v35, v6
	;; [unrolled: 1-line block ×4, first 2 shown]
	v_fma_f16 v40, -0.5, v42, v31
	v_sub_f16_e32 v23, v37, v23
	v_sub_f16_e32 v7, v47, v7
	;; [unrolled: 1-line block ×4, first 2 shown]
	v_fmac_f16_e32 v31, -0.5, v29
	v_add_f16_e32 v25, v25, v6
	v_sub_f16_e32 v5, v5, v35
	v_sub_f16_e32 v1, v1, v6
	v_add_f16_e32 v6, v46, v38
	v_fmac_f16_e32 v33, 0xb8b4, v26
	v_fmac_f16_e32 v19, 0x38b4, v26
	v_fmamk_f16 v26, v23, 0x3b9c, v40
	v_add_f16_e32 v29, v37, v41
	v_fmac_f16_e32 v40, 0xbb9c, v23
	v_fmamk_f16 v37, v7, 0xbb9c, v31
	v_add_f16_e32 v1, v5, v1
	v_fmac_f16_e32 v31, 0x3b9c, v7
	v_add_f16_e32 v5, v6, v4
	v_add_f16_e32 v6, v4, v21
	v_fmac_f16_e32 v26, 0x38b4, v7
	v_fmac_f16_e32 v40, 0xb8b4, v7
	;; [unrolled: 1-line block ×4, first 2 shown]
	v_add_f16_e32 v5, v5, v21
	v_add_f16_e32 v7, v38, v24
	v_fma_f16 v6, -0.5, v6, v46
	v_sub_f16_e32 v23, v36, v30
	v_fmac_f16_e32 v37, 0x34f2, v1
	v_fmac_f16_e32 v31, 0x34f2, v1
	v_add_f16_e32 v1, v5, v24
	v_sub_f16_e32 v5, v0, v2
	v_fmac_f16_e32 v46, -0.5, v7
	v_fmamk_f16 v7, v23, 0xbb9c, v6
	v_fmac_f16_e32 v6, 0x3b9c, v23
	v_fmac_f16_e32 v33, 0x34f2, v39
	;; [unrolled: 1-line block ×5, first 2 shown]
	v_sub_f16_e32 v29, v38, v4
	v_sub_f16_e32 v35, v24, v21
	v_fmamk_f16 v39, v5, 0x3b9c, v46
	v_fmac_f16_e32 v46, 0xbb9c, v5
	v_sub_f16_e32 v41, v4, v38
	v_sub_f16_e32 v42, v21, v24
	v_fmac_f16_e32 v7, 0xb8b4, v5
	v_fmac_f16_e32 v6, 0x38b4, v5
	v_add_f16_e32 v5, v0, v2
	v_add_f16_e32 v29, v29, v35
	v_fmac_f16_e32 v39, 0xb8b4, v23
	v_fmac_f16_e32 v46, 0x38b4, v23
	v_add_f16_e32 v23, v36, v30
	v_add_f16_e32 v35, v41, v42
	v_fma_f16 v5, -0.5, v5, v34
	v_sub_f16_e32 v24, v38, v24
	v_fmac_f16_e32 v7, 0x34f2, v29
	v_fmac_f16_e32 v6, 0x34f2, v29
	v_add_f16_e32 v29, v34, v36
	v_sub_f16_e32 v4, v4, v21
	v_fmac_f16_e32 v34, -0.5, v23
	v_fmac_f16_e32 v39, 0x34f2, v35
	v_fmac_f16_e32 v46, 0x34f2, v35
	v_fmamk_f16 v21, v24, 0x3b9c, v5
	v_sub_f16_e32 v23, v36, v0
	v_sub_f16_e32 v35, v30, v2
	v_fmamk_f16 v38, v4, 0xbb9c, v34
	v_sub_f16_e32 v36, v0, v36
	v_sub_f16_e32 v41, v2, v30
	v_fmac_f16_e32 v34, 0x3b9c, v4
	v_fmac_f16_e32 v5, 0xbb9c, v24
	;; [unrolled: 1-line block ×3, first 2 shown]
	v_add_f16_e32 v23, v23, v35
	v_fmac_f16_e32 v38, 0x38b4, v24
	v_add_f16_e32 v35, v36, v41
	v_fmac_f16_e32 v34, 0xb8b4, v24
	v_fmac_f16_e32 v5, 0xb8b4, v4
	v_add_f16_e32 v0, v29, v0
	v_fmac_f16_e32 v21, 0x34f2, v23
	v_fmac_f16_e32 v38, 0x34f2, v35
	;; [unrolled: 1-line block ×4, first 2 shown]
	v_add_f16_e32 v0, v0, v2
	v_mul_f16_e32 v2, 0xb8b4, v21
	v_mul_f16_e32 v21, 0x3a79, v21
	;; [unrolled: 1-line block ×8, first 2 shown]
	v_add_f16_e32 v0, v0, v30
	v_fmac_f16_e32 v2, 0x3a79, v7
	v_fmac_f16_e32 v21, 0x38b4, v7
	;; [unrolled: 1-line block ×8, first 2 shown]
	v_add_f16_e32 v29, v3, v1
	v_add_f16_e32 v30, v20, v2
	v_add_f16_e32 v6, v25, v0
	v_add_f16_e32 v7, v26, v21
	v_add_f16_e32 v35, v33, v4
	v_add_f16_e32 v36, v19, v24
	v_add_f16_e32 v39, v37, v38
	v_add_f16_e32 v42, v31, v34
	v_add_f16_e32 v41, v22, v23
	v_add_f16_e32 v43, v40, v5
	v_sub_f16_e32 v1, v3, v1
	v_sub_f16_e32 v0, v25, v0
	;; [unrolled: 1-line block ×10, first 2 shown]
	v_pack_b32_f16 v6, v29, v6
	v_pack_b32_f16 v7, v30, v7
	;; [unrolled: 1-line block ×10, first 2 shown]
	ds_write2_b32 v32, v6, v7 offset1:11
	ds_write2_b32 v32, v23, v24 offset0:22 offset1:33
	ds_write2_b32 v32, v25, v0 offset0:44 offset1:55
	;; [unrolled: 1-line block ×4, first 2 shown]
	s_waitcnt lgkmcnt(0)
	s_barrier
	buffer_gl0_inv
	ds_read2_b32 v[0:1], v27 offset1:55
	ds_read2_b32 v[2:3], v27 offset0:110 offset1:165
	ds_read2_b32 v[4:5], v18 offset0:92 offset1:147
	;; [unrolled: 1-line block ×4, first 2 shown]
	s_waitcnt lgkmcnt(4)
	v_lshrrev_b32_e32 v21, 16, v0
	s_waitcnt lgkmcnt(3)
	v_lshrrev_b32_e32 v22, 16, v2
	s_waitcnt lgkmcnt(2)
	v_lshrrev_b32_e32 v23, 16, v4
	s_waitcnt lgkmcnt(1)
	v_lshrrev_b32_e32 v24, 16, v6
	s_waitcnt lgkmcnt(0)
	v_lshrrev_b32_e32 v25, 16, v19
	v_mul_f16_sdwa v31, v12, v2 dst_sel:DWORD dst_unused:UNUSED_PAD src0_sel:WORD_1 src1_sel:DWORD
	v_mul_f16_sdwa v30, v12, v22 dst_sel:DWORD dst_unused:UNUSED_PAD src0_sel:WORD_1 src1_sel:DWORD
	v_lshrrev_b32_e32 v29, 16, v3
	v_mul_f16_sdwa v35, v14, v6 dst_sel:DWORD dst_unused:UNUSED_PAD src0_sel:WORD_1 src1_sel:DWORD
	v_mul_f16_sdwa v36, v15, v25 dst_sel:DWORD dst_unused:UNUSED_PAD src0_sel:WORD_1 src1_sel:DWORD
	v_lshrrev_b32_e32 v32, 16, v5
	v_fmac_f16_e32 v30, v12, v2
	v_fma_f16 v2, v12, v22, -v31
	v_mul_f16_sdwa v12, v13, v23 dst_sel:DWORD dst_unused:UNUSED_PAD src0_sel:WORD_1 src1_sel:DWORD
	v_mul_f16_sdwa v22, v13, v4 dst_sel:DWORD dst_unused:UNUSED_PAD src0_sel:WORD_1 src1_sel:DWORD
	;; [unrolled: 1-line block ×3, first 2 shown]
	v_fmac_f16_e32 v36, v15, v19
	v_lshrrev_b32_e32 v33, 16, v7
	v_fmac_f16_e32 v12, v13, v4
	v_fma_f16 v4, v13, v23, -v22
	v_fmac_f16_e32 v31, v14, v6
	v_fma_f16 v6, v14, v24, -v35
	v_mul_f16_sdwa v13, v15, v19 dst_sel:DWORD dst_unused:UNUSED_PAD src0_sel:WORD_1 src1_sel:DWORD
	v_mul_f16_sdwa v14, v8, v29 dst_sel:DWORD dst_unused:UNUSED_PAD src0_sel:WORD_1 src1_sel:DWORD
	;; [unrolled: 1-line block ×3, first 2 shown]
	v_lshrrev_b32_e32 v34, 16, v20
	v_mul_f16_sdwa v22, v9, v32 dst_sel:DWORD dst_unused:UNUSED_PAD src0_sel:WORD_1 src1_sel:DWORD
	v_mul_f16_sdwa v23, v9, v5 dst_sel:DWORD dst_unused:UNUSED_PAD src0_sel:WORD_1 src1_sel:DWORD
	v_fma_f16 v13, v15, v25, -v13
	v_fmac_f16_e32 v14, v8, v3
	v_fma_f16 v3, v8, v29, -v19
	v_add_f16_e32 v8, v12, v31
	v_fmac_f16_e32 v22, v9, v5
	v_fma_f16 v5, v9, v32, -v23
	v_mul_f16_sdwa v9, v10, v33 dst_sel:DWORD dst_unused:UNUSED_PAD src0_sel:WORD_1 src1_sel:DWORD
	v_mul_f16_sdwa v15, v10, v7 dst_sel:DWORD dst_unused:UNUSED_PAD src0_sel:WORD_1 src1_sel:DWORD
	;; [unrolled: 1-line block ×3, first 2 shown]
	v_add_f16_e32 v23, v0, v30
	v_fma_f16 v8, -0.5, v8, v0
	v_sub_f16_e32 v24, v2, v13
	v_fmac_f16_e32 v9, v10, v7
	v_fma_f16 v7, v10, v33, -v15
	v_fmac_f16_e32 v19, v11, v20
	v_add_f16_e32 v10, v23, v12
	v_fmamk_f16 v15, v24, 0xbb9c, v8
	v_sub_f16_e32 v23, v4, v6
	v_sub_f16_e32 v25, v30, v12
	;; [unrolled: 1-line block ×3, first 2 shown]
	v_add_f16_e32 v32, v30, v36
	v_mul_f16_sdwa v20, v11, v20 dst_sel:DWORD dst_unused:UNUSED_PAD src0_sel:WORD_1 src1_sel:DWORD
	v_fmac_f16_e32 v8, 0x3b9c, v24
	v_fmac_f16_e32 v15, 0xb8b4, v23
	v_add_f16_e32 v25, v25, v29
	v_fma_f16 v0, -0.5, v32, v0
	v_fma_f16 v11, v11, v34, -v20
	v_sub_f16_e32 v29, v12, v30
	v_sub_f16_e32 v32, v31, v36
	v_fmac_f16_e32 v8, 0x38b4, v23
	v_add_f16_e32 v33, v21, v2
	v_add_f16_e32 v34, v4, v6
	v_fmac_f16_e32 v15, 0x34f2, v25
	v_fmamk_f16 v20, v23, 0x3b9c, v0
	v_add_f16_e32 v29, v29, v32
	v_fmac_f16_e32 v0, 0xbb9c, v23
	v_add_f16_e32 v23, v33, v4
	v_fma_f16 v32, -0.5, v34, v21
	v_sub_f16_e32 v30, v30, v36
	v_fmac_f16_e32 v8, 0x34f2, v25
	v_add_f16_e32 v25, v2, v13
	v_add_f16_e32 v10, v10, v31
	v_fmac_f16_e32 v20, 0xb8b4, v24
	v_fmac_f16_e32 v0, 0x38b4, v24
	v_add_f16_e32 v23, v23, v6
	v_fmamk_f16 v24, v30, 0x3b9c, v32
	v_sub_f16_e32 v12, v12, v31
	v_sub_f16_e32 v31, v2, v4
	;; [unrolled: 1-line block ×3, first 2 shown]
	v_fmac_f16_e32 v21, -0.5, v25
	v_fmac_f16_e32 v32, 0xbb9c, v30
	v_sub_f16_e32 v2, v4, v2
	v_sub_f16_e32 v4, v6, v13
	v_add_f16_e32 v6, v22, v9
	v_fmac_f16_e32 v20, 0x34f2, v29
	v_fmac_f16_e32 v0, 0x34f2, v29
	;; [unrolled: 1-line block ×3, first 2 shown]
	v_add_f16_e32 v25, v31, v33
	v_fmamk_f16 v29, v12, 0xbb9c, v21
	v_fmac_f16_e32 v32, 0xb8b4, v12
	v_add_f16_e32 v2, v2, v4
	v_fmac_f16_e32 v21, 0x3b9c, v12
	v_add_f16_e32 v4, v1, v14
	v_fma_f16 v6, -0.5, v6, v1
	v_sub_f16_e32 v12, v3, v11
	v_add_f16_e32 v23, v23, v13
	v_fmac_f16_e32 v24, 0x34f2, v25
	v_fmac_f16_e32 v29, 0x38b4, v30
	;; [unrolled: 1-line block ×4, first 2 shown]
	v_add_f16_e32 v4, v4, v22
	v_fmamk_f16 v13, v12, 0xbb9c, v6
	v_sub_f16_e32 v25, v5, v7
	v_sub_f16_e32 v30, v14, v22
	;; [unrolled: 1-line block ×3, first 2 shown]
	v_fmac_f16_e32 v6, 0x3b9c, v12
	v_add_f16_e32 v33, v14, v19
	v_lshrrev_b32_e32 v26, 16, v1
	v_add_f16_e32 v4, v4, v9
	v_fmac_f16_e32 v13, 0xb8b4, v25
	v_add_f16_e32 v30, v30, v31
	v_fmac_f16_e32 v6, 0x38b4, v25
	v_fmac_f16_e32 v1, -0.5, v33
	v_sub_f16_e32 v31, v22, v14
	v_sub_f16_e32 v33, v9, v19
	v_fmac_f16_e32 v29, 0x34f2, v2
	v_fmac_f16_e32 v21, 0x34f2, v2
	v_add_f16_e32 v2, v4, v19
	v_fmac_f16_e32 v13, 0x34f2, v30
	v_fmac_f16_e32 v6, 0x34f2, v30
	v_fmamk_f16 v4, v25, 0x3b9c, v1
	v_add_f16_e32 v30, v5, v7
	v_fmac_f16_e32 v1, 0xbb9c, v25
	v_sub_f16_e32 v14, v14, v19
	v_add_f16_e32 v19, v31, v33
	v_add_f16_e32 v31, v3, v11
	;; [unrolled: 1-line block ×3, first 2 shown]
	v_fma_f16 v30, -0.5, v30, v26
	v_fmac_f16_e32 v4, 0xb8b4, v12
	v_fmac_f16_e32 v1, 0x38b4, v12
	v_sub_f16_e32 v9, v22, v9
	v_fmac_f16_e32 v26, -0.5, v31
	v_add_f16_e32 v12, v25, v5
	v_fmamk_f16 v25, v14, 0x3b9c, v30
	v_fmac_f16_e32 v4, 0x34f2, v19
	v_fmac_f16_e32 v1, 0x34f2, v19
	v_sub_f16_e32 v19, v3, v5
	v_sub_f16_e32 v22, v11, v7
	v_fmamk_f16 v31, v9, 0xbb9c, v26
	v_sub_f16_e32 v3, v5, v3
	v_sub_f16_e32 v5, v7, v11
	v_fmac_f16_e32 v26, 0x3b9c, v9
	v_fmac_f16_e32 v30, 0xbb9c, v14
	v_add_f16_e32 v12, v12, v7
	v_fmac_f16_e32 v25, 0x38b4, v9
	v_add_f16_e32 v7, v19, v22
	;; [unrolled: 2-line block ×3, first 2 shown]
	v_fmac_f16_e32 v26, 0xb8b4, v14
	v_fmac_f16_e32 v30, 0xb8b4, v9
	v_add_f16_e32 v10, v10, v36
	v_add_f16_e32 v5, v12, v11
	v_fmac_f16_e32 v25, 0x34f2, v7
	v_fmac_f16_e32 v31, 0x34f2, v3
	;; [unrolled: 1-line block ×4, first 2 shown]
	v_pack_b32_f16 v3, v10, v23
	v_pack_b32_f16 v2, v2, v5
	;; [unrolled: 1-line block ×10, first 2 shown]
	ds_write2_b32 v27, v3, v2 offset1:55
	ds_write2_b32 v27, v7, v5 offset0:110 offset1:165
	ds_write2_b32 v18, v9, v4 offset0:92 offset1:147
	;; [unrolled: 1-line block ×4, first 2 shown]
	s_waitcnt lgkmcnt(0)
	s_barrier
	buffer_gl0_inv
	s_and_b32 exec_lo, exec_lo, vcc_lo
	s_cbranch_execz .LBB0_15
; %bb.14:
	s_clause 0x5
	global_load_dword v2, v27, s[20:21]
	global_load_dword v3, v27, s[20:21] offset:200
	global_load_dword v4, v27, s[20:21] offset:400
	global_load_dword v5, v27, s[20:21] offset:600
	global_load_dword v24, v27, s[20:21] offset:800
	global_load_dword v25, v27, s[20:21] offset:1000
	v_mad_u64_u32 v[10:11], null, s6, v16, 0
	v_mad_u64_u32 v[12:13], null, s4, v28, 0
	ds_read_b32 v26, v27
	global_load_dword v6, v27, s[20:21] offset:1200
	ds_read2_b32 v[14:15], v27 offset0:50 offset1:100
	ds_read2_b32 v[19:20], v27 offset0:150 offset1:200
	v_mov_b32_e32 v0, v11
	s_mov_b32 s22, 0xdca01dca
	v_mov_b32_e32 v7, v13
	s_mov_b32 s23, 0x3f5dca01
	s_mul_i32 s0, s5, 0xc8
	v_mad_u64_u32 v[21:22], null, s7, v16, v[0:1]
	v_mad_u64_u32 v[22:23], null, s5, v28, v[7:8]
	ds_read2_b32 v[0:1], v18 offset0:122 offset1:172
	s_mul_hi_u32 s24, s4, 0xc8
	s_mul_i32 s19, s4, 0xc8
	s_add_i32 s24, s24, s0
	v_mov_b32_e32 v11, v21
	s_clause 0x2
	global_load_dword v7, v27, s[20:21] offset:1400
	global_load_dword v9, v27, s[20:21] offset:1600
	;; [unrolled: 1-line block ×3, first 2 shown]
	v_mov_b32_e32 v13, v22
	s_waitcnt lgkmcnt(3)
	v_lshrrev_b32_e32 v16, 16, v26
	v_lshlrev_b64 v[10:11], 2, v[10:11]
	s_waitcnt lgkmcnt(2)
	v_lshrrev_b32_e32 v18, 16, v14
	v_lshlrev_b64 v[12:13], 2, v[12:13]
	v_lshrrev_b32_e32 v21, 16, v15
	s_waitcnt lgkmcnt(1)
	v_lshrrev_b32_e32 v22, 16, v19
	v_lshrrev_b32_e32 v23, 16, v20
	v_add_co_u32 v10, vcc_lo, s8, v10
	v_add_co_ci_u32_e32 v11, vcc_lo, s9, v11, vcc_lo
	v_add_co_u32 v10, vcc_lo, v10, v12
	v_add_co_ci_u32_e32 v11, vcc_lo, v11, v13, vcc_lo
	s_waitcnt lgkmcnt(0)
	v_lshrrev_b32_e32 v28, 16, v0
	s_waitcnt vmcnt(9)
	v_mul_f16_sdwa v12, v16, v2 dst_sel:DWORD dst_unused:UNUSED_PAD src0_sel:DWORD src1_sel:WORD_1
	v_mul_f16_sdwa v13, v26, v2 dst_sel:DWORD dst_unused:UNUSED_PAD src0_sel:DWORD src1_sel:WORD_1
	s_waitcnt vmcnt(8)
	v_mul_f16_sdwa v29, v18, v3 dst_sel:DWORD dst_unused:UNUSED_PAD src0_sel:DWORD src1_sel:WORD_1
	v_mul_f16_sdwa v30, v14, v3 dst_sel:DWORD dst_unused:UNUSED_PAD src0_sel:DWORD src1_sel:WORD_1
	s_waitcnt vmcnt(7)
	v_mul_f16_sdwa v31, v21, v4 dst_sel:DWORD dst_unused:UNUSED_PAD src0_sel:DWORD src1_sel:WORD_1
	v_fmac_f16_e32 v12, v26, v2
	v_mul_f16_sdwa v32, v15, v4 dst_sel:DWORD dst_unused:UNUSED_PAD src0_sel:DWORD src1_sel:WORD_1
	s_waitcnt vmcnt(6)
	v_mul_f16_sdwa v33, v22, v5 dst_sel:DWORD dst_unused:UNUSED_PAD src0_sel:DWORD src1_sel:WORD_1
	v_mul_f16_sdwa v34, v19, v5 dst_sel:DWORD dst_unused:UNUSED_PAD src0_sel:DWORD src1_sel:WORD_1
	v_fma_f16 v2, v2, v16, -v13
	v_fmac_f16_e32 v29, v14, v3
	v_fma_f16 v13, v3, v18, -v30
	v_cvt_f32_f16_e32 v3, v12
	s_waitcnt vmcnt(5)
	v_mul_f16_sdwa v35, v23, v24 dst_sel:DWORD dst_unused:UNUSED_PAD src0_sel:DWORD src1_sel:WORD_1
	v_mul_f16_sdwa v36, v20, v24 dst_sel:DWORD dst_unused:UNUSED_PAD src0_sel:DWORD src1_sel:WORD_1
	v_fmac_f16_e32 v31, v15, v4
	v_fma_f16 v4, v4, v21, -v32
	v_fmac_f16_e32 v33, v19, v5
	v_fma_f16 v14, v5, v22, -v34
	v_cvt_f32_f16_e32 v5, v2
	v_cvt_f64_f32_e32 v[2:3], v3
	v_fmac_f16_e32 v35, v20, v24
	v_fma_f16 v12, v24, v23, -v36
	v_cvt_f32_f16_e32 v15, v29
	v_cvt_f32_f16_e32 v20, v4
	v_cvt_f64_f32_e32 v[4:5], v5
	v_cvt_f32_f16_e32 v16, v13
	v_cvt_f32_f16_e32 v30, v12
	v_cvt_f64_f32_e32 v[12:13], v15
	s_waitcnt vmcnt(4)
	v_mul_f16_sdwa v37, v28, v25 dst_sel:DWORD dst_unused:UNUSED_PAD src0_sel:DWORD src1_sel:WORD_1
	v_cvt_f32_f16_e32 v18, v31
	v_cvt_f32_f16_e32 v24, v14
	v_cvt_f64_f32_e32 v[14:15], v16
	v_cvt_f32_f16_e32 v22, v33
	v_fmac_f16_e32 v37, v0, v25
	v_cvt_f64_f32_e32 v[18:19], v18
	v_cvt_f64_f32_e32 v[20:21], v20
	v_mul_f16_sdwa v38, v0, v25 dst_sel:DWORD dst_unused:UNUSED_PAD src0_sel:DWORD src1_sel:WORD_1
	v_cvt_f64_f32_e32 v[22:23], v22
	v_cvt_f32_f16_e32 v16, v37
	v_cvt_f32_f16_e32 v26, v35
	v_cvt_f64_f32_e32 v[30:31], v30
	v_mul_f64 v[36:37], v[2:3], s[22:23]
	v_fma_f16 v0, v25, v28, -v38
	v_cvt_f64_f32_e32 v[32:33], v16
	v_cvt_f64_f32_e32 v[24:25], v24
	v_add_co_u32 v38, vcc_lo, v10, s19
	v_mul_f64 v[40:41], v[4:5], s[22:23]
	v_add_co_ci_u32_e32 v39, vcc_lo, s24, v11, vcc_lo
	v_mul_f64 v[12:13], v[12:13], s[22:23]
	v_cvt_f32_f16_e32 v0, v0
	v_cvt_f64_f32_e32 v[28:29], v26
	v_mul_f64 v[14:15], v[14:15], s[22:23]
	v_add_co_u32 v42, vcc_lo, v38, s19
	v_mul_f64 v[18:19], v[18:19], s[22:23]
	v_add_co_ci_u32_e32 v43, vcc_lo, s24, v39, vcc_lo
	v_cvt_f64_f32_e32 v[34:35], v0
	v_add_co_u32 v44, vcc_lo, v42, s19
	v_mul_f64 v[20:21], v[20:21], s[22:23]
	v_and_or_b32 v0, 0x1ff, v37, v36
	v_add_co_ci_u32_e32 v45, vcc_lo, s24, v43, vcc_lo
	v_mul_f64 v[4:5], v[32:33], s[22:23]
	v_mul_f64 v[22:23], v[22:23], s[22:23]
	v_cmp_ne_u32_e32 vcc_lo, 0, v0
	v_and_or_b32 v33, 0x1ff, v41, v40
	v_mul_f64 v[24:25], v[24:25], s[22:23]
	v_mul_f64 v[30:31], v[30:31], s[22:23]
	v_and_or_b32 v12, 0x1ff, v13, v12
	v_cndmask_b32_e64 v0, 0, 1, vcc_lo
	v_cmp_ne_u32_e32 vcc_lo, 0, v33
	v_and_or_b32 v14, 0x1ff, v15, v14
	v_mul_f64 v[28:29], v[28:29], s[22:23]
	v_lshrrev_b32_e32 v16, 8, v37
	v_and_or_b32 v18, 0x1ff, v19, v18
	v_cndmask_b32_e64 v33, 0, 1, vcc_lo
	v_cmp_ne_u32_e32 vcc_lo, 0, v12
	v_mul_f64 v[2:3], v[34:35], s[22:23]
	v_bfe_u32 v26, v37, 20, 11
	v_lshrrev_b32_e32 v34, 8, v41
	v_and_or_b32 v20, 0x1ff, v21, v20
	v_cndmask_b32_e64 v12, 0, 1, vcc_lo
	v_cmp_ne_u32_e32 vcc_lo, 0, v14
	v_bfe_u32 v35, v41, 20, 11
	v_and_or_b32 v4, 0x1ff, v5, v4
	v_and_or_b32 v22, 0x1ff, v23, v22
	v_and_or_b32 v0, 0xffe, v16, v0
	v_cndmask_b32_e64 v14, 0, 1, vcc_lo
	v_cmp_ne_u32_e32 vcc_lo, 0, v18
	v_and_or_b32 v24, 0x1ff, v25, v24
	v_and_or_b32 v30, 0x1ff, v31, v30
	v_lshrrev_b32_e32 v32, 16, v37
	v_lshrrev_b32_e32 v37, 8, v13
	v_cndmask_b32_e64 v18, 0, 1, vcc_lo
	v_cmp_ne_u32_e32 vcc_lo, 0, v20
	v_and_or_b32 v28, 0x1ff, v29, v28
	v_bfe_u32 v40, v13, 20, 11
	v_bfe_u32 v46, v15, 20, 11
	v_sub_nc_u32_e32 v61, 0x3f1, v26
	v_cndmask_b32_e64 v20, 0, 1, vcc_lo
	v_cmp_ne_u32_e32 vcc_lo, 0, v22
	v_add_nc_u32_e32 v26, 0xfffffc10, v26
	v_sub_nc_u32_e32 v62, 0x3f1, v35
	v_and_or_b32 v33, 0xffe, v34, v33
	v_lshrrev_b32_e32 v36, 16, v41
	v_cndmask_b32_e64 v22, 0, 1, vcc_lo
	v_cmp_ne_u32_e32 vcc_lo, 0, v24
	v_lshrrev_b32_e32 v41, 8, v15
	v_bfe_u32 v48, v19, 20, 11
	v_bfe_u32 v50, v21, 20, 11
	v_add_nc_u32_e32 v35, 0xfffffc10, v35
	v_cndmask_b32_e64 v24, 0, 1, vcc_lo
	v_cmp_ne_u32_e32 vcc_lo, 0, v28
	v_sub_nc_u32_e32 v63, 0x3f1, v40
	v_sub_nc_u32_e32 v64, 0x3f1, v46
	v_med3_i32 v16, v61, 0, 13
	v_med3_i32 v34, v62, 0, 13
	v_cndmask_b32_e64 v28, 0, 1, vcc_lo
	v_cmp_ne_u32_e32 vcc_lo, 0, v30
	v_and_or_b32 v12, 0xffe, v37, v12
	v_or_b32_e32 v61, 0x1000, v0
	v_lshl_or_b32 v62, v26, 12, v0
	v_lshrrev_b32_e32 v47, 8, v19
	v_cndmask_b32_e64 v30, 0, 1, vcc_lo
	v_cmp_ne_u32_e32 vcc_lo, 0, v4
	v_lshrrev_b32_e32 v49, 8, v21
	v_bfe_u32 v52, v23, 20, 11
	v_bfe_u32 v54, v25, 20, 11
	v_add_nc_u32_e32 v40, 0xfffffc10, v40
	v_cndmask_b32_e64 v4, 0, 1, vcc_lo
	v_cmp_ne_u32_e32 vcc_lo, 0, v0
	v_sub_nc_u32_e32 v65, 0x3f1, v48
	v_sub_nc_u32_e32 v66, 0x3f1, v50
	v_med3_i32 v37, v63, 0, 13
	v_and_or_b32 v14, 0xffe, v41, v14
	v_cndmask_b32_e64 v0, 0, 1, vcc_lo
	v_cmp_ne_u32_e32 vcc_lo, 0, v33
	v_med3_i32 v41, v64, 0, 13
	v_or_b32_e32 v63, 0x1000, v33
	v_lshl_or_b32 v64, v35, 12, v33
	v_lshrrev_b32_e32 v51, 8, v23
	v_cndmask_b32_e64 v33, 0, 1, vcc_lo
	v_cmp_ne_u32_e32 vcc_lo, 0, v12
	v_lshrrev_b32_e32 v53, 8, v25
	v_bfe_u32 v56, v29, 20, 11
	v_bfe_u32 v58, v31, 20, 11
	v_add_nc_u32_e32 v46, 0xfffffc10, v46
	v_sub_nc_u32_e32 v67, 0x3f1, v52
	v_sub_nc_u32_e32 v68, 0x3f1, v54
	v_and_or_b32 v18, 0xffe, v47, v18
	v_med3_i32 v47, v65, 0, 13
	v_and_or_b32 v20, 0xffe, v49, v20
	v_med3_i32 v49, v66, 0, 13
	v_or_b32_e32 v65, 0x1000, v12
	v_lshl_or_b32 v66, v40, 12, v12
	v_cndmask_b32_e64 v12, 0, 1, vcc_lo
	v_cmp_ne_u32_e32 vcc_lo, 0, v14
	v_lshrrev_b32_e32 v55, 8, v29
	v_lshrrev_b32_e32 v57, 8, v31
	v_add_nc_u32_e32 v48, 0xfffffc10, v48
	v_sub_nc_u32_e32 v69, 0x3f1, v56
	v_sub_nc_u32_e32 v70, 0x3f1, v58
	v_and_or_b32 v22, 0xffe, v51, v22
	v_med3_i32 v51, v67, 0, 13
	v_and_or_b32 v24, 0xffe, v53, v24
	v_med3_i32 v53, v68, 0, 13
	v_or_b32_e32 v67, 0x1000, v14
	v_lshl_or_b32 v68, v46, 12, v14
	v_cndmask_b32_e64 v14, 0, 1, vcc_lo
	v_cmp_ne_u32_e32 vcc_lo, 0, v18
	v_add_nc_u32_e32 v50, 0xfffffc10, v50
	v_and_or_b32 v28, 0xffe, v55, v28
	v_med3_i32 v55, v69, 0, 13
	v_and_or_b32 v30, 0xffe, v57, v30
	v_med3_i32 v57, v70, 0, 13
	v_or_b32_e32 v69, 0x1000, v18
	v_lshl_or_b32 v70, v48, 12, v18
	v_cndmask_b32_e64 v18, 0, 1, vcc_lo
	v_cmp_ne_u32_e32 vcc_lo, 0, v20
	v_add_nc_u32_e32 v52, 0xfffffc10, v52
	v_or_b32_e32 v71, 0x1000, v20
	v_lshl_or_b32 v72, v50, 12, v20
	v_add_nc_u32_e32 v54, 0xfffffc10, v54
	v_cndmask_b32_e64 v20, 0, 1, vcc_lo
	v_cmp_ne_u32_e32 vcc_lo, 0, v22
	v_or_b32_e32 v73, 0x1000, v22
	v_lshl_or_b32 v74, v52, 12, v22
	v_lshrrev_b32_e32 v81, v16, v61
	v_add_nc_u32_e32 v56, 0xfffffc10, v56
	v_cndmask_b32_e64 v22, 0, 1, vcc_lo
	v_cmp_ne_u32_e32 vcc_lo, 0, v24
	v_or_b32_e32 v75, 0x1000, v24
	v_lshl_or_b32 v76, v54, 12, v24
	v_lshrrev_b32_e32 v82, v34, v63
	v_lshlrev_b32_e32 v16, v16, v81
	v_cndmask_b32_e64 v24, 0, 1, vcc_lo
	v_cmp_ne_u32_e32 vcc_lo, 0, v28
	v_or_b32_e32 v77, 0x1000, v28
	v_lshl_or_b32 v78, v56, 12, v28
	v_lshrrev_b32_e32 v83, v37, v65
	v_lshlrev_b32_e32 v34, v34, v82
	v_cndmask_b32_e64 v28, 0, 1, vcc_lo
	v_cmp_ne_u32_e32 vcc_lo, v16, v61
	v_lshrrev_b32_e32 v84, v41, v67
	v_lshlrev_b32_e32 v37, v37, v83
	v_lshrrev_b32_e32 v85, v47, v69
	v_lshrrev_b32_e32 v86, v49, v71
	v_cndmask_b32_e64 v16, 0, 1, vcc_lo
	v_cmp_ne_u32_e32 vcc_lo, v34, v63
	v_lshlrev_b32_e32 v41, v41, v84
	v_lshlrev_b32_e32 v47, v47, v85
	v_lshrrev_b32_e32 v87, v51, v73
	v_lshlrev_b32_e32 v49, v49, v86
	v_cndmask_b32_e64 v34, 0, 1, vcc_lo
	v_cmp_ne_u32_e32 vcc_lo, v37, v65
	v_lshrrev_b32_e32 v88, v53, v75
	v_lshlrev_b32_e32 v51, v51, v87
	v_or_b32_e32 v79, 0x1000, v30
	v_lshrrev_b32_e32 v89, v55, v77
	v_cndmask_b32_e64 v37, 0, 1, vcc_lo
	v_cmp_ne_u32_e32 vcc_lo, v41, v67
	v_lshlrev_b32_e32 v53, v53, v88
	v_lshrrev_b32_e32 v90, v57, v79
	v_lshlrev_b32_e32 v55, v55, v89
	v_or_b32_e32 v16, v81, v16
	v_cndmask_b32_e64 v41, 0, 1, vcc_lo
	v_cmp_ne_u32_e32 vcc_lo, v47, v69
	v_lshlrev_b32_e32 v57, v57, v90
	v_or_b32_e32 v34, v82, v34
	v_or_b32_e32 v37, v83, v37
	;; [unrolled: 1-line block ×3, first 2 shown]
	v_cndmask_b32_e64 v47, 0, 1, vcc_lo
	v_cmp_ne_u32_e32 vcc_lo, v49, v71
	v_add_nc_u32_e32 v58, 0xfffffc10, v58
	v_lshl_or_b32 v0, v0, 9, 0x7c00
	v_lshl_or_b32 v33, v33, 9, 0x7c00
	v_or_b32_e32 v47, v85, v47
	v_cndmask_b32_e64 v49, 0, 1, vcc_lo
	v_cmp_ne_u32_e32 vcc_lo, v51, v73
	v_lshl_or_b32 v80, v58, 12, v30
	v_lshl_or_b32 v12, v12, 9, 0x7c00
	;; [unrolled: 1-line block ×3, first 2 shown]
	v_or_b32_e32 v49, v86, v49
	v_cndmask_b32_e64 v51, 0, 1, vcc_lo
	v_cmp_ne_u32_e32 vcc_lo, v53, v75
	v_lshl_or_b32 v18, v18, 9, 0x7c00
	v_lshrrev_b32_e32 v13, 16, v13
	v_lshl_or_b32 v20, v20, 9, 0x7c00
	v_or_b32_e32 v51, v87, v51
	v_cndmask_b32_e64 v53, 0, 1, vcc_lo
	v_cmp_ne_u32_e32 vcc_lo, v55, v77
	v_lshrrev_b32_e32 v15, 16, v15
	v_lshl_or_b32 v22, v22, 9, 0x7c00
	v_lshrrev_b32_e32 v19, 16, v19
	v_or_b32_e32 v53, v88, v53
	v_cndmask_b32_e64 v55, 0, 1, vcc_lo
	v_cmp_ne_u32_e32 vcc_lo, v57, v79
	v_lshrrev_b32_e32 v23, 16, v23
	v_lshrrev_b32_e32 v59, 8, v5
	v_bfe_u32 v60, v5, 20, 11
	v_or_b32_e32 v55, v89, v55
	v_cndmask_b32_e64 v57, 0, 1, vcc_lo
	v_cmp_gt_i32_e32 vcc_lo, 1, v26
	v_lshl_or_b32 v24, v24, 9, 0x7c00
	v_lshrrev_b32_e32 v21, 16, v21
	v_lshrrev_b32_e32 v25, 16, v25
	v_or_b32_e32 v57, v90, v57
	v_cndmask_b32_e32 v16, v62, v16, vcc_lo
	v_cmp_gt_i32_e32 vcc_lo, 1, v35
	v_lshl_or_b32 v28, v28, 9, 0x7c00
	v_and_or_b32 v4, 0xffe, v59, v4
	v_and_or_b32 v2, 0x1ff, v3, v2
	v_and_b32_e32 v61, 7, v16
	v_cndmask_b32_e32 v34, v64, v34, vcc_lo
	v_cmp_gt_i32_e32 vcc_lo, 1, v40
	v_lshrrev_b32_e32 v16, 2, v16
	v_lshrrev_b32_e32 v29, 16, v29
	v_cmp_eq_u32_e64 s0, 3, v61
	v_and_b32_e32 v62, 7, v34
	v_cndmask_b32_e32 v37, v66, v37, vcc_lo
	v_cmp_gt_i32_e32 vcc_lo, 1, v46
	v_lshrrev_b32_e32 v34, 2, v34
	v_lshrrev_b32_e32 v5, 16, v5
	v_cmp_lt_i32_e64 s1, 5, v62
	v_and_b32_e32 v63, 7, v37
	v_cndmask_b32_e32 v41, v68, v41, vcc_lo
	v_cmp_gt_i32_e32 vcc_lo, 1, v48
	v_cmp_eq_u32_e64 s2, 3, v62
	v_lshrrev_b32_e32 v37, 2, v37
	v_cmp_lt_i32_e64 s3, 5, v63
	v_and_b32_e32 v64, 7, v41
	v_cndmask_b32_e32 v47, v70, v47, vcc_lo
	v_cmp_gt_i32_e32 vcc_lo, 1, v50
	v_cmp_eq_u32_e64 s4, 3, v63
	;; [unrolled: 6-line block ×6, first 2 shown]
	v_lshrrev_b32_e32 v53, 2, v53
	v_cmp_lt_i32_e64 s13, 5, v68
	v_and_b32_e32 v69, 7, v55
	v_cndmask_b32_e32 v57, v80, v57, vcc_lo
	v_cmp_lt_i32_e32 vcc_lo, 5, v61
	v_cmp_eq_u32_e64 s14, 3, v68
	v_lshrrev_b32_e32 v55, 2, v55
	v_cmp_lt_i32_e64 s15, 5, v69
	v_and_b32_e32 v70, 7, v57
	s_or_b32 vcc_lo, s0, vcc_lo
	v_cmp_eq_u32_e64 s16, 3, v69
	v_add_co_ci_u32_e32 v16, vcc_lo, 0, v16, vcc_lo
	s_or_b32 vcc_lo, s2, s1
	v_cmp_lt_i32_e64 s17, 5, v70
	v_add_co_ci_u32_e32 v34, vcc_lo, 0, v34, vcc_lo
	s_or_b32 vcc_lo, s4, s3
	v_cmp_eq_u32_e64 s18, 3, v70
	v_add_co_ci_u32_e32 v37, vcc_lo, 0, v37, vcc_lo
	s_or_b32 vcc_lo, s6, s5
	v_lshrrev_b32_e32 v57, 2, v57
	v_add_co_ci_u32_e32 v41, vcc_lo, 0, v41, vcc_lo
	s_or_b32 vcc_lo, s8, s7
	v_add_co_ci_u32_e32 v47, vcc_lo, 0, v47, vcc_lo
	s_or_b32 vcc_lo, s10, s9
	;; [unrolled: 2-line block ×6, first 2 shown]
	v_add_co_ci_u32_e32 v57, vcc_lo, 0, v57, vcc_lo
	v_cmp_gt_i32_e32 vcc_lo, 31, v26
	v_cndmask_b32_e32 v16, 0x7c00, v16, vcc_lo
	v_cmp_gt_i32_e32 vcc_lo, 31, v35
	v_cndmask_b32_e32 v34, 0x7c00, v34, vcc_lo
	;; [unrolled: 2-line block ×9, first 2 shown]
	v_cmp_eq_u32_e32 vcc_lo, 0x40f, v26
	v_cndmask_b32_e32 v0, v16, v0, vcc_lo
	v_cmp_eq_u32_e32 vcc_lo, 0x40f, v35
	v_and_or_b32 v0, 0x8000, v32, v0
	v_cndmask_b32_e32 v16, v34, v33, vcc_lo
	v_cmp_eq_u32_e32 vcc_lo, 0x40f, v40
	v_and_b32_e32 v0, 0xffff, v0
	v_and_or_b32 v16, 0x8000, v36, v16
	v_cndmask_b32_e32 v12, v37, v12, vcc_lo
	v_cmp_eq_u32_e32 vcc_lo, 0x40f, v46
	v_lshl_or_b32 v0, v16, 16, v0
	v_and_or_b32 v12, 0x8000, v13, v12
	v_cndmask_b32_e32 v14, v41, v14, vcc_lo
	v_cmp_eq_u32_e32 vcc_lo, 0x40f, v48
	v_lshrrev_b32_e32 v16, 16, v1
	v_and_b32_e32 v12, 0xffff, v12
	v_and_or_b32 v13, 0x8000, v15, v14
	v_cndmask_b32_e32 v18, v47, v18, vcc_lo
	v_cmp_eq_u32_e32 vcc_lo, 0x40f, v50
	v_lshl_or_b32 v12, v13, 16, v12
	v_and_or_b32 v14, 0x8000, v19, v18
	v_cndmask_b32_e32 v20, v49, v20, vcc_lo
	v_cmp_eq_u32_e32 vcc_lo, 0x40f, v52
	global_store_dword v[10:11], v0, off
	global_store_dword v[38:39], v12, off
	v_sub_nc_u32_e32 v0, 0x3f1, v60
	v_and_b32_e32 v14, 0xffff, v14
	v_and_or_b32 v15, 0x8000, v21, v20
	v_cndmask_b32_e32 v22, v51, v22, vcc_lo
	v_cmp_eq_u32_e32 vcc_lo, 0x40f, v54
	v_or_b32_e32 v11, 0x1000, v4
	v_med3_i32 v0, v0, 0, 13
	v_lshl_or_b32 v14, v15, 16, v14
	v_and_or_b32 v18, 0x8000, v23, v22
	v_cndmask_b32_e32 v24, v53, v24, vcc_lo
	v_cmp_eq_u32_e32 vcc_lo, 0x40f, v56
	s_waitcnt vmcnt(3)
	v_mul_f16_sdwa v12, v16, v6 dst_sel:DWORD dst_unused:UNUSED_PAD src0_sel:DWORD src1_sel:WORD_1
	v_add_nc_u32_e32 v22, 0xfffffc10, v60
	v_and_b32_e32 v18, 0xffff, v18
	v_and_or_b32 v19, 0x8000, v25, v24
	v_cndmask_b32_e32 v13, v55, v28, vcc_lo
	v_cmp_ne_u32_e32 vcc_lo, 0, v30
	v_fmac_f16_e32 v12, v1, v6
	v_bfe_u32 v23, v3, 20, 11
	v_lshl_or_b32 v15, v19, 16, v18
	v_lshrrev_b32_e32 v19, v0, v11
	v_cndmask_b32_e64 v10, 0, 1, vcc_lo
	v_cmp_gt_i32_e32 vcc_lo, 31, v58
	v_lshrrev_b32_e32 v20, 16, v31
	global_load_dword v21, v27, s[20:21] offset:2000
	v_lshlrev_b32_e32 v0, v0, v19
	v_lshl_or_b32 v10, v10, 9, 0x7c00
	v_cndmask_b32_e32 v18, 0x7c00, v57, vcc_lo
	v_cmp_eq_u32_e32 vcc_lo, 0x40f, v58
	global_store_dword v[42:43], v14, off
	global_store_dword v[44:45], v15, off
	v_and_or_b32 v13, 0x8000, v29, v13
	v_mul_f16_sdwa v1, v1, v6 dst_sel:DWORD dst_unused:UNUSED_PAD src0_sel:DWORD src1_sel:WORD_1
	v_cndmask_b32_e32 v18, v18, v10, vcc_lo
	v_cmp_ne_u32_e32 vcc_lo, v0, v11
	v_cvt_f32_f16_e32 v10, v12
	v_lshrrev_b32_e32 v12, 8, v3
	v_and_b32_e32 v13, 0xffff, v13
	v_and_or_b32 v18, 0x8000, v20, v18
	v_cndmask_b32_e64 v0, 0, 1, vcc_lo
	v_cmp_ne_u32_e32 vcc_lo, 0, v2
	v_cvt_f64_f32_e32 v[10:11], v10
	v_fma_f16 v1, v6, v16, -v1
	v_lshl_or_b32 v18, v18, 16, v13
	v_or_b32_e32 v0, v19, v0
	v_cndmask_b32_e64 v2, 0, 1, vcc_lo
	v_lshl_or_b32 v19, v22, 12, v4
	v_cmp_gt_i32_e32 vcc_lo, 1, v22
	v_and_or_b32 v2, 0xffe, v12, v2
	v_sub_nc_u32_e32 v12, 0x3f1, v23
	v_cndmask_b32_e32 v0, v19, v0, vcc_lo
	v_or_b32_e32 v19, 0x1000, v2
	v_med3_i32 v20, v12, 0, 13
	v_and_b32_e32 v14, 7, v0
	v_add_co_u32 v12, vcc_lo, v44, s19
	v_add_co_ci_u32_e32 v13, vcc_lo, s24, v45, vcc_lo
	v_lshrrev_b32_e32 v15, v20, v19
	v_mul_f64 v[10:11], v[10:11], s[22:23]
	v_cmp_lt_i32_e32 vcc_lo, 5, v14
	v_cmp_eq_u32_e64 s0, 3, v14
	v_lshrrev_b32_e32 v0, 2, v0
	v_lshlrev_b32_e32 v20, v20, v15
	global_store_dword v[12:13], v18, off
	s_or_b32 vcc_lo, s0, vcc_lo
	v_cmp_ne_u32_e64 s1, v20, v19
	v_add_co_ci_u32_e32 v6, vcc_lo, 0, v0, vcc_lo
	v_add_nc_u32_e32 v19, 0xfffffc10, v23
	v_cmp_ne_u32_e32 vcc_lo, 0, v4
	v_cndmask_b32_e64 v14, 0, 1, s1
	v_lshl_or_b32 v20, v19, 12, v2
	v_cndmask_b32_e64 v4, 0, 1, vcc_lo
	v_or_b32_e32 v16, v15, v14
	v_cvt_f32_f16_e32 v14, v1
	v_cmp_gt_i32_e32 vcc_lo, 1, v19
	v_and_or_b32 v10, 0x1ff, v11, v10
	ds_read2_b32 v[0:1], v17 offset0:94 offset1:144
	v_lshl_or_b32 v4, v4, 9, 0x7c00
	v_cvt_f64_f32_e32 v[14:15], v14
	v_cndmask_b32_e32 v16, v20, v16, vcc_lo
	v_cmp_gt_i32_e32 vcc_lo, 31, v22
	v_lshrrev_b32_e32 v23, 8, v11
	v_bfe_u32 v24, v11, 20, 11
	v_lshrrev_b32_e32 v11, 16, v11
	v_and_b32_e32 v20, 7, v16
	v_cndmask_b32_e32 v6, 0x7c00, v6, vcc_lo
	v_cmp_ne_u32_e32 vcc_lo, 0, v10
	v_lshrrev_b32_e32 v16, 2, v16
	v_cmp_eq_u32_e64 s0, 3, v20
	v_cndmask_b32_e64 v10, 0, 1, vcc_lo
	v_cmp_eq_u32_e32 vcc_lo, 0x40f, v22
	v_cndmask_b32_e32 v4, v6, v4, vcc_lo
	v_cmp_lt_i32_e32 vcc_lo, 5, v20
	v_and_or_b32 v6, 0xffe, v23, v10
	v_mul_f64 v[14:15], v[14:15], s[22:23]
	v_sub_nc_u32_e32 v10, 0x3f1, v24
	s_waitcnt lgkmcnt(0)
	v_lshrrev_b32_e32 v20, 16, v0
	s_or_b32 vcc_lo, s0, vcc_lo
	v_or_b32_e32 v22, 0x1000, v6
	v_add_co_ci_u32_e32 v16, vcc_lo, 0, v16, vcc_lo
	v_med3_i32 v10, v10, 0, 13
	v_cmp_ne_u32_e32 vcc_lo, 0, v2
	s_waitcnt vmcnt(3)
	v_mul_f16_sdwa v23, v20, v7 dst_sel:DWORD dst_unused:UNUSED_PAD src0_sel:DWORD src1_sel:WORD_1
	v_and_or_b32 v4, 0x8000, v5, v4
	v_lshrrev_b32_e32 v25, v10, v22
	v_cndmask_b32_e64 v2, 0, 1, vcc_lo
	v_cmp_gt_i32_e32 vcc_lo, 31, v19
	v_fmac_f16_e32 v23, v0, v7
	v_and_b32_e32 v4, 0xffff, v4
	v_lshlrev_b32_e32 v10, v10, v25
	v_lshl_or_b32 v2, v2, 9, 0x7c00
	v_cndmask_b32_e32 v16, 0x7c00, v16, vcc_lo
	v_cmp_eq_u32_e32 vcc_lo, 0x40f, v19
	v_cvt_f32_f16_e32 v23, v23
	v_and_or_b32 v14, 0x1ff, v15, v14
	v_lshrrev_b32_e32 v19, 16, v3
	v_mul_f16_sdwa v0, v0, v7 dst_sel:DWORD dst_unused:UNUSED_PAD src0_sel:DWORD src1_sel:WORD_1
	v_cndmask_b32_e32 v16, v16, v2, vcc_lo
	v_cmp_ne_u32_e32 vcc_lo, v10, v22
	v_add_nc_u32_e32 v22, 0xfffffc10, v24
	v_cvt_f64_f32_e32 v[2:3], v23
	v_bfe_u32 v23, v15, 20, 11
	v_and_or_b32 v5, 0x8000, v19, v16
	v_cndmask_b32_e64 v10, 0, 1, vcc_lo
	v_cmp_ne_u32_e32 vcc_lo, 0, v14
	v_lshl_or_b32 v16, v22, 12, v6
	v_lshrrev_b32_e32 v19, 8, v15
	v_lshl_or_b32 v18, v5, 16, v4
	v_or_b32_e32 v10, v25, v10
	v_cndmask_b32_e64 v14, 0, 1, vcc_lo
	v_cmp_gt_i32_e32 vcc_lo, 1, v22
	v_fma_f16 v0, v7, v20, -v0
	v_lshrrev_b32_e32 v15, 16, v15
	v_and_or_b32 v14, 0xffe, v19, v14
	v_cndmask_b32_e32 v10, v16, v10, vcc_lo
	v_sub_nc_u32_e32 v16, 0x3f1, v23
	v_add_co_u32 v4, vcc_lo, v12, s19
	v_or_b32_e32 v24, 0x1000, v14
	v_and_b32_e32 v19, 7, v10
	v_med3_i32 v16, v16, 0, 13
	v_add_co_ci_u32_e32 v5, vcc_lo, s24, v13, vcc_lo
	v_mul_f64 v[2:3], v[2:3], s[22:23]
	v_cmp_lt_i32_e32 vcc_lo, 5, v19
	v_lshrrev_b32_e32 v12, v16, v24
	v_cmp_eq_u32_e64 s0, 3, v19
	v_lshrrev_b32_e32 v10, 2, v10
	v_cvt_f32_f16_e32 v0, v0
	global_store_dword v[4:5], v18, off
	v_lshlrev_b32_e32 v7, v16, v12
	s_or_b32 vcc_lo, s0, vcc_lo
	v_add_nc_u32_e32 v16, 0xfffffc10, v23
	v_add_co_ci_u32_e32 v10, vcc_lo, 0, v10, vcc_lo
	v_cmp_ne_u32_e32 vcc_lo, v7, v24
	v_lshrrev_b32_e32 v19, 16, v1
	v_cndmask_b32_e64 v13, 0, 1, vcc_lo
	v_cmp_ne_u32_e32 vcc_lo, 0, v6
	v_cvt_f64_f32_e32 v[6:7], v0
	v_or_b32_e32 v0, v12, v13
	v_cndmask_b32_e64 v18, 0, 1, vcc_lo
	v_cmp_gt_i32_e32 vcc_lo, 31, v22
	v_lshl_or_b32 v12, v16, 12, v14
	v_and_or_b32 v2, 0x1ff, v3, v2
	v_lshl_or_b32 v13, v18, 9, 0x7c00
	v_cndmask_b32_e32 v10, 0x7c00, v10, vcc_lo
	v_cmp_gt_i32_e32 vcc_lo, 1, v16
	v_bfe_u32 v18, v3, 20, 11
	v_cndmask_b32_e32 v0, v12, v0, vcc_lo
	v_cmp_ne_u32_e32 vcc_lo, 0, v2
	v_lshrrev_b32_e32 v12, 8, v3
	v_lshrrev_b32_e32 v3, 16, v3
	v_cndmask_b32_e64 v2, 0, 1, vcc_lo
	v_cmp_eq_u32_e32 vcc_lo, 0x40f, v22
	v_mul_f64 v[6:7], v[6:7], s[22:23]
	s_waitcnt vmcnt(2)
	v_mul_f16_sdwa v22, v19, v9 dst_sel:DWORD dst_unused:UNUSED_PAD src0_sel:DWORD src1_sel:WORD_1
	v_and_or_b32 v2, 0xffe, v12, v2
	v_cndmask_b32_e32 v10, v10, v13, vcc_lo
	v_and_b32_e32 v13, 7, v0
	v_sub_nc_u32_e32 v12, 0x3f1, v18
	v_lshrrev_b32_e32 v0, 2, v0
	v_or_b32_e32 v20, 0x1000, v2
	v_fmac_f16_e32 v22, v1, v9
	v_cmp_lt_i32_e32 vcc_lo, 5, v13
	v_cmp_eq_u32_e64 s0, 3, v13
	v_med3_i32 v12, v12, 0, 13
	v_and_or_b32 v13, 0x8000, v11, v10
	v_cvt_f32_f16_e32 v11, v22
	v_add_nc_u32_e32 v18, 0xfffffc10, v18
	s_or_b32 vcc_lo, s0, vcc_lo
	v_lshrrev_b32_e32 v23, v12, v20
	v_add_co_ci_u32_e32 v0, vcc_lo, 0, v0, vcc_lo
	v_cmp_ne_u32_e32 vcc_lo, 0, v14
	v_and_b32_e32 v13, 0xffff, v13
	v_lshlrev_b32_e32 v12, v12, v23
	v_and_or_b32 v6, 0x1ff, v7, v6
	v_mul_f16_sdwa v1, v1, v9 dst_sel:DWORD dst_unused:UNUSED_PAD src0_sel:DWORD src1_sel:WORD_1
	v_cndmask_b32_e64 v10, 0, 1, vcc_lo
	v_cmp_gt_i32_e32 vcc_lo, 31, v16
	v_fma_f16 v9, v9, v19, -v1
	v_lshl_or_b32 v14, v10, 9, 0x7c00
	v_cndmask_b32_e32 v0, 0x7c00, v0, vcc_lo
	v_cmp_ne_u32_e32 vcc_lo, v12, v20
	v_cvt_f64_f32_e32 v[10:11], v11
	v_bfe_u32 v20, v7, 20, 11
	v_cvt_f32_f16_e32 v9, v9
	v_cndmask_b32_e64 v12, 0, 1, vcc_lo
	v_cmp_eq_u32_e32 vcc_lo, 0x40f, v16
	v_lshrrev_b32_e32 v16, 8, v7
	v_lshrrev_b32_e32 v7, 16, v7
	v_or_b32_e32 v12, v23, v12
	v_cndmask_b32_e32 v0, v0, v14, vcc_lo
	v_cmp_ne_u32_e32 vcc_lo, 0, v6
	v_lshl_or_b32 v14, v18, 12, v2
	v_and_or_b32 v0, 0x8000, v15, v0
	v_cndmask_b32_e64 v6, 0, 1, vcc_lo
	v_cmp_gt_i32_e32 vcc_lo, 1, v18
	v_lshl_or_b32 v22, v0, 16, v13
	v_and_or_b32 v6, 0xffe, v16, v6
	v_cndmask_b32_e32 v12, v14, v12, vcc_lo
	v_sub_nc_u32_e32 v14, 0x3f1, v20
	v_mul_f64 v[10:11], v[10:11], s[22:23]
	v_add_co_u32 v0, s1, v4, s19
	v_and_b32_e32 v15, 7, v12
	v_or_b32_e32 v16, 0x1000, v6
	v_med3_i32 v14, v14, 0, 13
	v_lshrrev_b32_e32 v4, 2, v12
	v_add_co_ci_u32_e64 v1, s1, s24, v5, s1
	v_cmp_lt_i32_e32 vcc_lo, 5, v15
	v_cmp_eq_u32_e64 s0, 3, v15
	v_lshrrev_b32_e32 v15, v14, v16
	s_or_b32 vcc_lo, s0, vcc_lo
	v_lshlrev_b32_e32 v12, v14, v15
	v_add_co_ci_u32_e32 v14, vcc_lo, 0, v4, vcc_lo
	ds_read2_b32 v[4:5], v17 offset0:194 offset1:244
	v_add_nc_u32_e32 v17, 0xfffffc10, v20
	v_cmp_ne_u32_e32 vcc_lo, v12, v16
	v_cvt_f64_f32_e32 v[12:13], v9
	v_and_or_b32 v9, 0x1ff, v11, v10
	v_bfe_u32 v19, v11, 20, 11
	v_cndmask_b32_e64 v16, 0, 1, vcc_lo
	v_cmp_gt_i32_e32 vcc_lo, 31, v18
	v_or_b32_e32 v10, v15, v16
	v_cndmask_b32_e32 v14, 0x7c00, v14, vcc_lo
	v_cmp_ne_u32_e32 vcc_lo, 0, v9
	v_lshrrev_b32_e32 v16, 8, v11
	v_lshl_or_b32 v15, v17, 12, v6
	v_lshrrev_b32_e32 v11, 16, v11
	v_cndmask_b32_e64 v9, 0, 1, vcc_lo
	v_cmp_ne_u32_e32 vcc_lo, 0, v2
	s_waitcnt lgkmcnt(0)
	v_lshrrev_b32_e32 v20, 16, v4
	v_and_or_b32 v16, 0xffe, v16, v9
	v_cndmask_b32_e64 v2, 0, 1, vcc_lo
	v_cmp_gt_i32_e32 vcc_lo, 1, v17
	v_sub_nc_u32_e32 v9, 0x3f1, v19
	v_add_nc_u32_e32 v19, 0xfffffc10, v19
	v_or_b32_e32 v24, 0x1000, v16
	v_lshl_or_b32 v2, v2, 9, 0x7c00
	v_cndmask_b32_e32 v15, v15, v10, vcc_lo
	v_cmp_eq_u32_e32 vcc_lo, 0x40f, v18
	v_med3_i32 v25, v9, 0, 13
	v_mul_f64 v[9:10], v[12:13], s[22:23]
	s_waitcnt vmcnt(1)
	v_mul_f16_sdwa v12, v20, v8 dst_sel:DWORD dst_unused:UNUSED_PAD src0_sel:DWORD src1_sel:WORD_1
	v_and_b32_e32 v23, 7, v15
	v_cndmask_b32_e32 v2, v14, v2, vcc_lo
	v_lshrrev_b32_e32 v13, v25, v24
	v_fmac_f16_e32 v12, v4, v8
	v_cmp_lt_i32_e32 vcc_lo, 5, v23
	v_cmp_eq_u32_e64 s0, 3, v23
	v_and_or_b32 v14, 0x8000, v3, v2
	v_lshrrev_b32_e32 v2, 2, v15
	v_lshlrev_b32_e32 v3, v25, v13
	v_cvt_f32_f16_e32 v12, v12
	s_or_b32 vcc_lo, s0, vcc_lo
	v_mul_f16_sdwa v4, v4, v8 dst_sel:DWORD dst_unused:UNUSED_PAD src0_sel:DWORD src1_sel:WORD_1
	v_add_co_ci_u32_e32 v15, vcc_lo, 0, v2, vcc_lo
	v_cmp_ne_u32_e32 vcc_lo, v3, v24
	v_cvt_f64_f32_e32 v[2:3], v12
	v_fma_f16 v4, v8, v20, -v4
	v_cndmask_b32_e64 v18, 0, 1, vcc_lo
	v_cmp_ne_u32_e32 vcc_lo, 0, v6
	v_and_or_b32 v9, 0x1ff, v10, v9
	v_cvt_f32_f16_e32 v4, v4
	v_or_b32_e32 v12, v13, v18
	v_cndmask_b32_e64 v6, 0, 1, vcc_lo
	v_cmp_gt_i32_e32 vcc_lo, 31, v17
	v_lshl_or_b32 v13, v19, 12, v16
	v_bfe_u32 v18, v10, 20, 11
	v_lshl_or_b32 v6, v6, 9, 0x7c00
	v_cndmask_b32_e32 v15, 0x7c00, v15, vcc_lo
	v_cmp_gt_i32_e32 vcc_lo, 1, v19
	v_cndmask_b32_e32 v12, v13, v12, vcc_lo
	v_cmp_ne_u32_e32 vcc_lo, 0, v9
	v_lshrrev_b32_e32 v13, 8, v10
	v_mul_f64 v[2:3], v[2:3], s[22:23]
	v_and_b32_e32 v23, 7, v12
	v_cndmask_b32_e64 v9, 0, 1, vcc_lo
	v_cmp_eq_u32_e32 vcc_lo, 0x40f, v17
	v_cmp_eq_u32_e64 s0, 3, v23
	v_and_or_b32 v13, 0xffe, v13, v9
	v_cndmask_b32_e32 v6, v15, v6, vcc_lo
	v_sub_nc_u32_e32 v9, 0x3f1, v18
	v_cmp_lt_i32_e32 vcc_lo, 5, v23
	v_or_b32_e32 v15, 0x1000, v13
	v_and_or_b32 v6, 0x8000, v7, v6
	v_lshrrev_b32_e32 v7, 2, v12
	v_med3_i32 v9, v9, 0, 13
	s_or_b32 vcc_lo, s0, vcc_lo
	v_and_b32_e32 v12, 0xffff, v14
	v_add_co_ci_u32_e32 v7, vcc_lo, 0, v7, vcc_lo
	v_lshrrev_b32_e32 v14, v9, v15
	v_cmp_ne_u32_e32 vcc_lo, 0, v16
	v_lshl_or_b32 v17, v6, 16, v12
	v_and_or_b32 v2, 0x1ff, v3, v2
	v_lshlrev_b32_e32 v6, v9, v14
	v_cndmask_b32_e64 v16, 0, 1, vcc_lo
	v_cmp_gt_i32_e32 vcc_lo, 31, v19
	v_lshl_or_b32 v9, v16, 9, 0x7c00
	v_cndmask_b32_e32 v7, 0x7c00, v7, vcc_lo
	v_cmp_ne_u32_e32 vcc_lo, v6, v15
	v_add_nc_u32_e32 v15, 0xfffffc10, v18
	v_bfe_u32 v16, v3, 20, 11
	v_cndmask_b32_e64 v6, 0, 1, vcc_lo
	v_cmp_eq_u32_e32 vcc_lo, 0x40f, v19
	v_or_b32_e32 v8, v14, v6
	v_cndmask_b32_e32 v12, v7, v9, vcc_lo
	v_cmp_ne_u32_e32 vcc_lo, 0, v2
	v_lshl_or_b32 v9, v15, 12, v13
	v_lshrrev_b32_e32 v14, 8, v3
	v_cvt_f64_f32_e32 v[6:7], v4
	v_and_or_b32 v24, 0x8000, v11, v12
	v_cndmask_b32_e64 v2, 0, 1, vcc_lo
	v_cmp_gt_i32_e32 vcc_lo, 1, v15
	v_lshrrev_b32_e32 v3, 16, v3
	v_and_or_b32 v2, 0xffe, v14, v2
	v_cndmask_b32_e32 v4, v9, v8, vcc_lo
	v_sub_nc_u32_e32 v8, 0x3f1, v16
	v_lshrrev_b32_e32 v14, 16, v5
	v_add_nc_u32_e32 v16, 0xfffffc10, v16
	v_or_b32_e32 v19, 0x1000, v2
	v_and_b32_e32 v18, 7, v4
	v_med3_i32 v20, v8, 0, 13
	s_waitcnt vmcnt(0)
	v_mul_f16_sdwa v23, v14, v21 dst_sel:DWORD dst_unused:UNUSED_PAD src0_sel:DWORD src1_sel:WORD_1
	v_add_co_u32 v8, vcc_lo, v0, s19
	v_add_co_ci_u32_e32 v9, vcc_lo, s24, v1, vcc_lo
	v_lshrrev_b32_e32 v25, v20, v19
	v_fmac_f16_e32 v23, v5, v21
	v_cmp_lt_i32_e32 vcc_lo, 5, v18
	v_cmp_eq_u32_e64 s0, 3, v18
	v_lshrrev_b32_e32 v4, 2, v4
	v_lshlrev_b32_e32 v18, v20, v25
	v_cvt_f32_f16_e32 v11, v23
	v_mul_f64 v[6:7], v[6:7], s[22:23]
	s_or_b32 vcc_lo, s0, vcc_lo
	v_mul_f16_sdwa v5, v5, v21 dst_sel:DWORD dst_unused:UNUSED_PAD src0_sel:DWORD src1_sel:WORD_1
	v_add_co_ci_u32_e32 v4, vcc_lo, 0, v4, vcc_lo
	v_cmp_ne_u32_e32 vcc_lo, v18, v19
	v_cvt_f64_f32_e32 v[11:12], v11
	v_lshl_or_b32 v19, v16, 12, v2
	v_fma_f16 v5, v21, v14, -v5
	v_cndmask_b32_e64 v18, 0, 1, vcc_lo
	v_cmp_ne_u32_e32 vcc_lo, 0, v13
	v_cvt_f32_f16_e32 v5, v5
	v_or_b32_e32 v18, v25, v18
	v_cndmask_b32_e64 v13, 0, 1, vcc_lo
	v_cmp_gt_i32_e32 vcc_lo, 31, v15
	v_lshl_or_b32 v13, v13, 9, 0x7c00
	v_cndmask_b32_e32 v4, 0x7c00, v4, vcc_lo
	v_cmp_gt_i32_e32 vcc_lo, 1, v16
	v_and_or_b32 v6, 0x1ff, v7, v6
	v_cndmask_b32_e32 v14, v19, v18, vcc_lo
	v_cmp_eq_u32_e32 vcc_lo, 0x40f, v15
	v_lshrrev_b32_e32 v15, 16, v10
	v_mul_f64 v[10:11], v[11:12], s[22:23]
	v_lshrrev_b32_e32 v12, 8, v7
	v_and_b32_e32 v18, 7, v14
	v_cndmask_b32_e32 v13, v4, v13, vcc_lo
	v_cvt_f64_f32_e32 v[4:5], v5
	v_cmp_ne_u32_e32 vcc_lo, 0, v6
	v_bfe_u32 v19, v7, 20, 11
	v_cmp_eq_u32_e64 s0, 3, v18
	v_lshrrev_b32_e32 v14, 2, v14
	v_and_or_b32 v13, 0x8000, v15, v13
	v_cndmask_b32_e64 v6, 0, 1, vcc_lo
	v_cmp_lt_i32_e32 vcc_lo, 5, v18
	v_and_b32_e32 v15, 0xffff, v24
	v_lshrrev_b32_e32 v7, 16, v7
	v_and_or_b32 v6, 0xffe, v12, v6
	v_sub_nc_u32_e32 v12, 0x3f1, v19
	s_or_b32 vcc_lo, s0, vcc_lo
	v_lshl_or_b32 v13, v13, 16, v15
	v_add_co_ci_u32_e32 v14, vcc_lo, 0, v14, vcc_lo
	v_or_b32_e32 v15, 0x1000, v6
	v_med3_i32 v12, v12, 0, 13
	v_cmp_ne_u32_e32 vcc_lo, 0, v2
	v_and_or_b32 v10, 0x1ff, v11, v10
	v_lshrrev_b32_e32 v20, 8, v11
	v_mul_f64 v[4:5], v[4:5], s[22:23]
	v_lshrrev_b32_e32 v18, v12, v15
	v_cndmask_b32_e64 v2, 0, 1, vcc_lo
	v_cmp_gt_i32_e32 vcc_lo, 31, v16
	v_bfe_u32 v21, v11, 20, 11
	v_lshrrev_b32_e32 v11, 16, v11
	v_lshlrev_b32_e32 v12, v12, v18
	v_lshl_or_b32 v2, v2, 9, 0x7c00
	v_cndmask_b32_e32 v14, 0x7c00, v14, vcc_lo
	v_cmp_ne_u32_e32 vcc_lo, 0, v10
	v_cndmask_b32_e64 v10, 0, 1, vcc_lo
	v_cmp_ne_u32_e32 vcc_lo, v12, v15
	v_add_nc_u32_e32 v15, 0xfffffc10, v19
	v_sub_nc_u32_e32 v19, 0x3f1, v21
	v_and_or_b32 v10, 0xffe, v20, v10
	v_cndmask_b32_e64 v12, 0, 1, vcc_lo
	v_cmp_eq_u32_e32 vcc_lo, 0x40f, v16
	v_and_or_b32 v4, 0x1ff, v5, v4
	v_bfe_u32 v20, v5, 20, 11
	v_or_b32_e32 v16, 0x1000, v10
	v_or_b32_e32 v12, v18, v12
	v_cndmask_b32_e32 v2, v14, v2, vcc_lo
	v_lshl_or_b32 v14, v15, 12, v6
	v_med3_i32 v18, v19, 0, 13
	v_cmp_gt_i32_e32 vcc_lo, 1, v15
	v_lshrrev_b32_e32 v19, 8, v5
	v_and_or_b32 v2, 0x8000, v3, v2
	v_lshrrev_b32_e32 v5, 16, v5
	v_cndmask_b32_e32 v12, v14, v12, vcc_lo
	v_lshrrev_b32_e32 v14, v18, v16
	v_cmp_ne_u32_e32 vcc_lo, 0, v4
	v_and_b32_e32 v23, 7, v12
	v_lshlrev_b32_e32 v18, v18, v14
	v_cndmask_b32_e64 v4, 0, 1, vcc_lo
	v_lshrrev_b32_e32 v12, 2, v12
	v_cmp_lt_i32_e32 vcc_lo, 5, v23
	v_cmp_ne_u32_e64 s0, v18, v16
	v_and_or_b32 v3, 0xffe, v19, v4
	v_sub_nc_u32_e32 v4, 0x3f1, v20
	v_add_nc_u32_e32 v19, 0xfffffc10, v21
	v_cndmask_b32_e64 v16, 0, 1, s0
	v_cmp_eq_u32_e64 s0, 3, v23
	v_or_b32_e32 v18, 0x1000, v3
	v_med3_i32 v4, v4, 0, 13
	v_lshl_or_b32 v21, v19, 12, v10
	v_or_b32_e32 v14, v14, v16
	s_or_b32 vcc_lo, s0, vcc_lo
	v_add_co_ci_u32_e32 v12, vcc_lo, 0, v12, vcc_lo
	v_lshrrev_b32_e32 v16, v4, v18
	v_cmp_gt_i32_e32 vcc_lo, 1, v19
	v_lshlrev_b32_e32 v4, v4, v16
	v_cndmask_b32_e32 v14, v21, v14, vcc_lo
	v_cmp_ne_u32_e32 vcc_lo, 0, v6
	v_cndmask_b32_e64 v6, 0, 1, vcc_lo
	v_cmp_ne_u32_e32 vcc_lo, v4, v18
	v_add_nc_u32_e32 v18, 0xfffffc10, v20
	v_and_b32_e32 v20, 7, v14
	v_lshl_or_b32 v6, v6, 9, 0x7c00
	v_cndmask_b32_e64 v4, 0, 1, vcc_lo
	v_cmp_gt_i32_e32 vcc_lo, 31, v15
	v_cmp_gt_i32_e64 s1, 1, v18
	v_cmp_eq_u32_e64 s0, 3, v20
	v_or_b32_e32 v4, v16, v4
	v_lshl_or_b32 v16, v18, 12, v3
	v_cndmask_b32_e32 v12, 0x7c00, v12, vcc_lo
	v_cmp_lt_i32_e32 vcc_lo, 5, v20
	v_cndmask_b32_e64 v4, v16, v4, s1
	v_cmp_eq_u32_e64 s1, 0x40f, v15
	s_or_b32 vcc_lo, s0, vcc_lo
	v_cndmask_b32_e64 v6, v12, v6, s1
	v_lshrrev_b32_e32 v12, 2, v14
	v_and_b32_e32 v14, 7, v4
	v_lshrrev_b32_e32 v4, 2, v4
	v_cmp_gt_i32_e64 s1, 31, v19
	v_and_or_b32 v6, 0x8000, v7, v6
	v_add_co_ci_u32_e32 v12, vcc_lo, 0, v12, vcc_lo
	v_cmp_ne_u32_e32 vcc_lo, 0, v10
	v_cmp_eq_u32_e64 s0, 3, v14
	v_and_b32_e32 v7, 0xffff, v2
	v_cndmask_b32_e64 v12, 0x7c00, v12, s1
	v_cndmask_b32_e64 v10, 0, 1, vcc_lo
	v_cmp_lt_i32_e32 vcc_lo, 5, v14
	v_lshl_or_b32 v10, v10, 9, 0x7c00
	s_or_b32 vcc_lo, s0, vcc_lo
	v_add_co_ci_u32_e32 v4, vcc_lo, 0, v4, vcc_lo
	v_cmp_ne_u32_e32 vcc_lo, 0, v3
	v_cndmask_b32_e64 v3, 0, 1, vcc_lo
	v_cmp_eq_u32_e32 vcc_lo, 0x40f, v19
	v_lshl_or_b32 v3, v3, 9, 0x7c00
	v_cndmask_b32_e32 v10, v12, v10, vcc_lo
	v_cmp_gt_i32_e32 vcc_lo, 31, v18
	v_and_or_b32 v10, 0x8000, v11, v10
	v_cndmask_b32_e32 v4, 0x7c00, v4, vcc_lo
	v_cmp_eq_u32_e32 vcc_lo, 0x40f, v18
	v_lshl_or_b32 v11, v6, 16, v7
	v_and_b32_e32 v7, 0xffff, v10
	v_cndmask_b32_e32 v4, v4, v3, vcc_lo
	v_add_co_u32 v2, vcc_lo, v8, s19
	v_add_co_ci_u32_e32 v3, vcc_lo, s24, v9, vcc_lo
	v_and_or_b32 v6, 0x8000, v5, v4
	v_add_co_u32 v4, vcc_lo, v2, s19
	v_add_co_ci_u32_e32 v5, vcc_lo, s24, v3, vcc_lo
	v_lshl_or_b32 v10, v6, 16, v7
	v_add_co_u32 v6, vcc_lo, v4, s19
	v_add_co_ci_u32_e32 v7, vcc_lo, s24, v5, vcc_lo
	global_store_dword v[0:1], v22, off
	global_store_dword v[8:9], v17, off
	;; [unrolled: 1-line block ×5, first 2 shown]
.LBB0_15:
	s_endpgm
	.section	.rodata,"a",@progbits
	.p2align	6, 0x0
	.amdhsa_kernel bluestein_single_back_len550_dim1_half_op_CI_CI
		.amdhsa_group_segment_fixed_size 2200
		.amdhsa_private_segment_fixed_size 0
		.amdhsa_kernarg_size 104
		.amdhsa_user_sgpr_count 6
		.amdhsa_user_sgpr_private_segment_buffer 1
		.amdhsa_user_sgpr_dispatch_ptr 0
		.amdhsa_user_sgpr_queue_ptr 0
		.amdhsa_user_sgpr_kernarg_segment_ptr 1
		.amdhsa_user_sgpr_dispatch_id 0
		.amdhsa_user_sgpr_flat_scratch_init 0
		.amdhsa_user_sgpr_private_segment_size 0
		.amdhsa_wavefront_size32 1
		.amdhsa_uses_dynamic_stack 0
		.amdhsa_system_sgpr_private_segment_wavefront_offset 0
		.amdhsa_system_sgpr_workgroup_id_x 1
		.amdhsa_system_sgpr_workgroup_id_y 0
		.amdhsa_system_sgpr_workgroup_id_z 0
		.amdhsa_system_sgpr_workgroup_info 0
		.amdhsa_system_vgpr_workitem_id 0
		.amdhsa_next_free_vgpr 113
		.amdhsa_next_free_sgpr 25
		.amdhsa_reserve_vcc 1
		.amdhsa_reserve_flat_scratch 0
		.amdhsa_float_round_mode_32 0
		.amdhsa_float_round_mode_16_64 0
		.amdhsa_float_denorm_mode_32 3
		.amdhsa_float_denorm_mode_16_64 3
		.amdhsa_dx10_clamp 1
		.amdhsa_ieee_mode 1
		.amdhsa_fp16_overflow 0
		.amdhsa_workgroup_processor_mode 1
		.amdhsa_memory_ordered 1
		.amdhsa_forward_progress 0
		.amdhsa_shared_vgpr_count 0
		.amdhsa_exception_fp_ieee_invalid_op 0
		.amdhsa_exception_fp_denorm_src 0
		.amdhsa_exception_fp_ieee_div_zero 0
		.amdhsa_exception_fp_ieee_overflow 0
		.amdhsa_exception_fp_ieee_underflow 0
		.amdhsa_exception_fp_ieee_inexact 0
		.amdhsa_exception_int_div_zero 0
	.end_amdhsa_kernel
	.text
.Lfunc_end0:
	.size	bluestein_single_back_len550_dim1_half_op_CI_CI, .Lfunc_end0-bluestein_single_back_len550_dim1_half_op_CI_CI
                                        ; -- End function
	.section	.AMDGPU.csdata,"",@progbits
; Kernel info:
; codeLenInByte = 17944
; NumSgprs: 27
; NumVgprs: 113
; ScratchSize: 0
; MemoryBound: 0
; FloatMode: 240
; IeeeMode: 1
; LDSByteSize: 2200 bytes/workgroup (compile time only)
; SGPRBlocks: 3
; VGPRBlocks: 14
; NumSGPRsForWavesPerEU: 27
; NumVGPRsForWavesPerEU: 113
; Occupancy: 8
; WaveLimiterHint : 1
; COMPUTE_PGM_RSRC2:SCRATCH_EN: 0
; COMPUTE_PGM_RSRC2:USER_SGPR: 6
; COMPUTE_PGM_RSRC2:TRAP_HANDLER: 0
; COMPUTE_PGM_RSRC2:TGID_X_EN: 1
; COMPUTE_PGM_RSRC2:TGID_Y_EN: 0
; COMPUTE_PGM_RSRC2:TGID_Z_EN: 0
; COMPUTE_PGM_RSRC2:TIDIG_COMP_CNT: 0
	.text
	.p2alignl 6, 3214868480
	.fill 48, 4, 3214868480
	.type	__hip_cuid_a97b8786bfba2f08,@object ; @__hip_cuid_a97b8786bfba2f08
	.section	.bss,"aw",@nobits
	.globl	__hip_cuid_a97b8786bfba2f08
__hip_cuid_a97b8786bfba2f08:
	.byte	0                               ; 0x0
	.size	__hip_cuid_a97b8786bfba2f08, 1

	.ident	"AMD clang version 19.0.0git (https://github.com/RadeonOpenCompute/llvm-project roc-6.4.0 25133 c7fe45cf4b819c5991fe208aaa96edf142730f1d)"
	.section	".note.GNU-stack","",@progbits
	.addrsig
	.addrsig_sym __hip_cuid_a97b8786bfba2f08
	.amdgpu_metadata
---
amdhsa.kernels:
  - .args:
      - .actual_access:  read_only
        .address_space:  global
        .offset:         0
        .size:           8
        .value_kind:     global_buffer
      - .actual_access:  read_only
        .address_space:  global
        .offset:         8
        .size:           8
        .value_kind:     global_buffer
      - .actual_access:  read_only
        .address_space:  global
        .offset:         16
        .size:           8
        .value_kind:     global_buffer
      - .actual_access:  read_only
        .address_space:  global
        .offset:         24
        .size:           8
        .value_kind:     global_buffer
      - .actual_access:  read_only
        .address_space:  global
        .offset:         32
        .size:           8
        .value_kind:     global_buffer
      - .offset:         40
        .size:           8
        .value_kind:     by_value
      - .address_space:  global
        .offset:         48
        .size:           8
        .value_kind:     global_buffer
      - .address_space:  global
        .offset:         56
        .size:           8
        .value_kind:     global_buffer
      - .address_space:  global
        .offset:         64
        .size:           8
        .value_kind:     global_buffer
      - .address_space:  global
        .offset:         72
        .size:           8
        .value_kind:     global_buffer
      - .offset:         80
        .size:           4
        .value_kind:     by_value
      - .address_space:  global
        .offset:         88
        .size:           8
        .value_kind:     global_buffer
      - .address_space:  global
        .offset:         96
        .size:           8
        .value_kind:     global_buffer
    .group_segment_fixed_size: 2200
    .kernarg_segment_align: 8
    .kernarg_segment_size: 104
    .language:       OpenCL C
    .language_version:
      - 2
      - 0
    .max_flat_workgroup_size: 55
    .name:           bluestein_single_back_len550_dim1_half_op_CI_CI
    .private_segment_fixed_size: 0
    .sgpr_count:     27
    .sgpr_spill_count: 0
    .symbol:         bluestein_single_back_len550_dim1_half_op_CI_CI.kd
    .uniform_work_group_size: 1
    .uses_dynamic_stack: false
    .vgpr_count:     113
    .vgpr_spill_count: 0
    .wavefront_size: 32
    .workgroup_processor_mode: 1
amdhsa.target:   amdgcn-amd-amdhsa--gfx1030
amdhsa.version:
  - 1
  - 2
...

	.end_amdgpu_metadata
